;; amdgpu-corpus repo=ROCm/rocFFT kind=compiled arch=gfx906 opt=O3
	.text
	.amdgcn_target "amdgcn-amd-amdhsa--gfx906"
	.amdhsa_code_object_version 6
	.protected	fft_rtc_back_len1445_factors_17_5_17_wgs_85_tpt_85_halfLds_dp_ip_CI_sbrr_dirReg ; -- Begin function fft_rtc_back_len1445_factors_17_5_17_wgs_85_tpt_85_halfLds_dp_ip_CI_sbrr_dirReg
	.globl	fft_rtc_back_len1445_factors_17_5_17_wgs_85_tpt_85_halfLds_dp_ip_CI_sbrr_dirReg
	.p2align	8
	.type	fft_rtc_back_len1445_factors_17_5_17_wgs_85_tpt_85_halfLds_dp_ip_CI_sbrr_dirReg,@function
fft_rtc_back_len1445_factors_17_5_17_wgs_85_tpt_85_halfLds_dp_ip_CI_sbrr_dirReg: ; @fft_rtc_back_len1445_factors_17_5_17_wgs_85_tpt_85_halfLds_dp_ip_CI_sbrr_dirReg
; %bb.0:
	s_load_dwordx2 s[14:15], s[4:5], 0x18
	s_load_dwordx4 s[8:11], s[4:5], 0x0
	s_load_dwordx2 s[12:13], s[4:5], 0x50
	v_mul_u32_u24_e32 v1, 0x304, v0
	v_add_u32_sdwa v5, s6, v1 dst_sel:DWORD dst_unused:UNUSED_PAD src0_sel:DWORD src1_sel:WORD_1
	s_waitcnt lgkmcnt(0)
	s_load_dwordx2 s[2:3], s[14:15], 0x0
	v_cmp_lt_u64_e64 s[0:1], s[10:11], 2
	v_mov_b32_e32 v3, 0
	v_mov_b32_e32 v1, 0
	;; [unrolled: 1-line block ×3, first 2 shown]
	s_and_b64 vcc, exec, s[0:1]
	v_mov_b32_e32 v2, 0
	s_cbranch_vccnz .LBB0_8
; %bb.1:
	s_load_dwordx2 s[0:1], s[4:5], 0x10
	s_add_u32 s6, s14, 8
	s_addc_u32 s7, s15, 0
	v_mov_b32_e32 v1, 0
	v_mov_b32_e32 v2, 0
	s_waitcnt lgkmcnt(0)
	s_add_u32 s16, s0, 8
	s_addc_u32 s17, s1, 0
	s_mov_b64 s[18:19], 1
.LBB0_2:                                ; =>This Inner Loop Header: Depth=1
	s_load_dwordx2 s[20:21], s[16:17], 0x0
                                        ; implicit-def: $vgpr7_vgpr8
	s_waitcnt lgkmcnt(0)
	v_or_b32_e32 v4, s21, v6
	v_cmp_ne_u64_e32 vcc, 0, v[3:4]
	s_and_saveexec_b64 s[0:1], vcc
	s_xor_b64 s[22:23], exec, s[0:1]
	s_cbranch_execz .LBB0_4
; %bb.3:                                ;   in Loop: Header=BB0_2 Depth=1
	v_cvt_f32_u32_e32 v4, s20
	v_cvt_f32_u32_e32 v7, s21
	s_sub_u32 s0, 0, s20
	s_subb_u32 s1, 0, s21
	v_mac_f32_e32 v4, 0x4f800000, v7
	v_rcp_f32_e32 v4, v4
	v_mul_f32_e32 v4, 0x5f7ffffc, v4
	v_mul_f32_e32 v7, 0x2f800000, v4
	v_trunc_f32_e32 v7, v7
	v_mac_f32_e32 v4, 0xcf800000, v7
	v_cvt_u32_f32_e32 v7, v7
	v_cvt_u32_f32_e32 v4, v4
	v_mul_lo_u32 v8, s0, v7
	v_mul_hi_u32 v9, s0, v4
	v_mul_lo_u32 v11, s1, v4
	v_mul_lo_u32 v10, s0, v4
	v_add_u32_e32 v8, v9, v8
	v_add_u32_e32 v8, v8, v11
	v_mul_hi_u32 v9, v4, v10
	v_mul_lo_u32 v11, v4, v8
	v_mul_hi_u32 v13, v4, v8
	v_mul_hi_u32 v12, v7, v10
	v_mul_lo_u32 v10, v7, v10
	v_mul_hi_u32 v14, v7, v8
	v_add_co_u32_e32 v9, vcc, v9, v11
	v_addc_co_u32_e32 v11, vcc, 0, v13, vcc
	v_mul_lo_u32 v8, v7, v8
	v_add_co_u32_e32 v9, vcc, v9, v10
	v_addc_co_u32_e32 v9, vcc, v11, v12, vcc
	v_addc_co_u32_e32 v10, vcc, 0, v14, vcc
	v_add_co_u32_e32 v8, vcc, v9, v8
	v_addc_co_u32_e32 v9, vcc, 0, v10, vcc
	v_add_co_u32_e32 v4, vcc, v4, v8
	v_addc_co_u32_e32 v7, vcc, v7, v9, vcc
	v_mul_lo_u32 v8, s0, v7
	v_mul_hi_u32 v9, s0, v4
	v_mul_lo_u32 v10, s1, v4
	v_mul_lo_u32 v11, s0, v4
	v_add_u32_e32 v8, v9, v8
	v_add_u32_e32 v8, v8, v10
	v_mul_lo_u32 v12, v4, v8
	v_mul_hi_u32 v13, v4, v11
	v_mul_hi_u32 v14, v4, v8
	;; [unrolled: 1-line block ×3, first 2 shown]
	v_mul_lo_u32 v11, v7, v11
	v_mul_hi_u32 v9, v7, v8
	v_add_co_u32_e32 v12, vcc, v13, v12
	v_addc_co_u32_e32 v13, vcc, 0, v14, vcc
	v_mul_lo_u32 v8, v7, v8
	v_add_co_u32_e32 v11, vcc, v12, v11
	v_addc_co_u32_e32 v10, vcc, v13, v10, vcc
	v_addc_co_u32_e32 v9, vcc, 0, v9, vcc
	v_add_co_u32_e32 v8, vcc, v10, v8
	v_addc_co_u32_e32 v9, vcc, 0, v9, vcc
	v_add_co_u32_e32 v4, vcc, v4, v8
	v_addc_co_u32_e32 v9, vcc, v7, v9, vcc
	v_mad_u64_u32 v[7:8], s[0:1], v5, v9, 0
	v_mul_hi_u32 v10, v5, v4
	v_add_co_u32_e32 v11, vcc, v10, v7
	v_addc_co_u32_e32 v12, vcc, 0, v8, vcc
	v_mad_u64_u32 v[7:8], s[0:1], v6, v4, 0
	v_mad_u64_u32 v[9:10], s[0:1], v6, v9, 0
	v_add_co_u32_e32 v4, vcc, v11, v7
	v_addc_co_u32_e32 v4, vcc, v12, v8, vcc
	v_addc_co_u32_e32 v7, vcc, 0, v10, vcc
	v_add_co_u32_e32 v4, vcc, v4, v9
	v_addc_co_u32_e32 v9, vcc, 0, v7, vcc
	v_mul_lo_u32 v10, s21, v4
	v_mul_lo_u32 v11, s20, v9
	v_mad_u64_u32 v[7:8], s[0:1], s20, v4, 0
	v_add3_u32 v8, v8, v11, v10
	v_sub_u32_e32 v10, v6, v8
	v_mov_b32_e32 v11, s21
	v_sub_co_u32_e32 v7, vcc, v5, v7
	v_subb_co_u32_e64 v10, s[0:1], v10, v11, vcc
	v_subrev_co_u32_e64 v11, s[0:1], s20, v7
	v_subbrev_co_u32_e64 v10, s[0:1], 0, v10, s[0:1]
	v_cmp_le_u32_e64 s[0:1], s21, v10
	v_cndmask_b32_e64 v12, 0, -1, s[0:1]
	v_cmp_le_u32_e64 s[0:1], s20, v11
	v_cndmask_b32_e64 v11, 0, -1, s[0:1]
	v_cmp_eq_u32_e64 s[0:1], s21, v10
	v_cndmask_b32_e64 v10, v12, v11, s[0:1]
	v_add_co_u32_e64 v11, s[0:1], 2, v4
	v_addc_co_u32_e64 v12, s[0:1], 0, v9, s[0:1]
	v_add_co_u32_e64 v13, s[0:1], 1, v4
	v_addc_co_u32_e64 v14, s[0:1], 0, v9, s[0:1]
	v_subb_co_u32_e32 v8, vcc, v6, v8, vcc
	v_cmp_ne_u32_e64 s[0:1], 0, v10
	v_cmp_le_u32_e32 vcc, s21, v8
	v_cndmask_b32_e64 v10, v14, v12, s[0:1]
	v_cndmask_b32_e64 v12, 0, -1, vcc
	v_cmp_le_u32_e32 vcc, s20, v7
	v_cndmask_b32_e64 v7, 0, -1, vcc
	v_cmp_eq_u32_e32 vcc, s21, v8
	v_cndmask_b32_e32 v7, v12, v7, vcc
	v_cmp_ne_u32_e32 vcc, 0, v7
	v_cndmask_b32_e64 v7, v13, v11, s[0:1]
	v_cndmask_b32_e32 v8, v9, v10, vcc
	v_cndmask_b32_e32 v7, v4, v7, vcc
.LBB0_4:                                ;   in Loop: Header=BB0_2 Depth=1
	s_andn2_saveexec_b64 s[0:1], s[22:23]
	s_cbranch_execz .LBB0_6
; %bb.5:                                ;   in Loop: Header=BB0_2 Depth=1
	v_cvt_f32_u32_e32 v4, s20
	s_sub_i32 s22, 0, s20
	v_rcp_iflag_f32_e32 v4, v4
	v_mul_f32_e32 v4, 0x4f7ffffe, v4
	v_cvt_u32_f32_e32 v4, v4
	v_mul_lo_u32 v7, s22, v4
	v_mul_hi_u32 v7, v4, v7
	v_add_u32_e32 v4, v4, v7
	v_mul_hi_u32 v4, v5, v4
	v_mul_lo_u32 v7, v4, s20
	v_add_u32_e32 v8, 1, v4
	v_sub_u32_e32 v7, v5, v7
	v_subrev_u32_e32 v9, s20, v7
	v_cmp_le_u32_e32 vcc, s20, v7
	v_cndmask_b32_e32 v7, v7, v9, vcc
	v_cndmask_b32_e32 v4, v4, v8, vcc
	v_add_u32_e32 v8, 1, v4
	v_cmp_le_u32_e32 vcc, s20, v7
	v_cndmask_b32_e32 v7, v4, v8, vcc
	v_mov_b32_e32 v8, v3
.LBB0_6:                                ;   in Loop: Header=BB0_2 Depth=1
	s_or_b64 exec, exec, s[0:1]
	v_mul_lo_u32 v4, v8, s20
	v_mul_lo_u32 v11, v7, s21
	v_mad_u64_u32 v[9:10], s[0:1], v7, s20, 0
	s_load_dwordx2 s[0:1], s[6:7], 0x0
	s_add_u32 s18, s18, 1
	v_add3_u32 v4, v10, v11, v4
	v_sub_co_u32_e32 v5, vcc, v5, v9
	v_subb_co_u32_e32 v4, vcc, v6, v4, vcc
	s_waitcnt lgkmcnt(0)
	v_mul_lo_u32 v4, s0, v4
	v_mul_lo_u32 v6, s1, v5
	v_mad_u64_u32 v[1:2], s[0:1], s0, v5, v[1:2]
	s_addc_u32 s19, s19, 0
	s_add_u32 s6, s6, 8
	v_add3_u32 v2, v6, v2, v4
	v_mov_b32_e32 v4, s10
	v_mov_b32_e32 v5, s11
	s_addc_u32 s7, s7, 0
	v_cmp_ge_u64_e32 vcc, s[18:19], v[4:5]
	s_add_u32 s16, s16, 8
	s_addc_u32 s17, s17, 0
	s_cbranch_vccnz .LBB0_9
; %bb.7:                                ;   in Loop: Header=BB0_2 Depth=1
	v_mov_b32_e32 v5, v7
	v_mov_b32_e32 v6, v8
	s_branch .LBB0_2
.LBB0_8:
	v_mov_b32_e32 v8, v6
	v_mov_b32_e32 v7, v5
.LBB0_9:
	s_lshl_b64 s[0:1], s[10:11], 3
	s_add_u32 s0, s14, s0
	s_addc_u32 s1, s15, s1
	s_load_dwordx2 s[6:7], s[0:1], 0x0
	s_load_dwordx2 s[10:11], s[4:5], 0x20
                                        ; implicit-def: $vgpr110
                                        ; implicit-def: $vgpr109
                                        ; implicit-def: $vgpr108
	s_waitcnt lgkmcnt(0)
	v_mad_u64_u32 v[1:2], s[0:1], s6, v7, v[1:2]
	s_mov_b32 s0, 0x3030304
	v_mul_lo_u32 v3, s6, v8
	v_mul_lo_u32 v4, s7, v7
	v_mul_hi_u32 v5, v0, s0
	v_cmp_gt_u64_e32 vcc, s[10:11], v[7:8]
	v_cmp_le_u64_e64 s[0:1], s[10:11], v[7:8]
	v_add3_u32 v2, v4, v2, v3
	v_mul_u32_u24_e32 v3, 0x55, v5
	v_sub_u32_e32 v112, v0, v3
                                        ; implicit-def: $sgpr6
	s_and_saveexec_b64 s[4:5], s[0:1]
	s_xor_b64 s[0:1], exec, s[4:5]
; %bb.10:
	v_add_u32_e32 v110, 0x55, v112
	v_add_u32_e32 v109, 0xaa, v112
	;; [unrolled: 1-line block ×3, first 2 shown]
	s_mov_b32 s6, 0
; %bb.11:
	s_or_saveexec_b64 s[4:5], s[0:1]
	v_lshlrev_b64 v[92:93], 4, v[1:2]
	v_mov_b32_e32 v178, s6
                                        ; implicit-def: $vgpr46_vgpr47
                                        ; implicit-def: $vgpr54_vgpr55
                                        ; implicit-def: $vgpr50_vgpr51
                                        ; implicit-def: $vgpr38_vgpr39
                                        ; implicit-def: $vgpr30_vgpr31
                                        ; implicit-def: $vgpr22_vgpr23
                                        ; implicit-def: $vgpr14_vgpr15
                                        ; implicit-def: $vgpr6_vgpr7
                                        ; implicit-def: $vgpr2_vgpr3
                                        ; implicit-def: $vgpr10_vgpr11
                                        ; implicit-def: $vgpr18_vgpr19
                                        ; implicit-def: $vgpr26_vgpr27
                                        ; implicit-def: $vgpr34_vgpr35
                                        ; implicit-def: $vgpr58_vgpr59
                                        ; implicit-def: $vgpr62_vgpr63
                                        ; implicit-def: $vgpr66_vgpr67
                                        ; implicit-def: $vgpr42_vgpr43
	s_xor_b64 exec, exec, s[4:5]
	s_cbranch_execz .LBB0_13
; %bb.12:
	v_mad_u64_u32 v[0:1], s[0:1], s2, v112, 0
	v_add_u32_e32 v110, 0x55, v112
	v_mov_b32_e32 v4, s13
	v_mad_u64_u32 v[1:2], s[0:1], s3, v112, v[1:2]
	v_mad_u64_u32 v[2:3], s[0:1], s2, v110, 0
	v_add_co_u32_e64 v8, s[0:1], s12, v92
	v_addc_co_u32_e64 v9, s[0:1], v4, v93, s[0:1]
	v_mad_u64_u32 v[3:4], s[0:1], s3, v110, v[3:4]
	v_add_u32_e32 v109, 0xaa, v112
	v_mad_u64_u32 v[4:5], s[0:1], s2, v109, 0
	v_lshlrev_b64 v[0:1], 4, v[0:1]
	v_add_u32_e32 v108, 0xff, v112
	v_add_co_u32_e64 v44, s[0:1], v8, v0
	v_addc_co_u32_e64 v45, s[0:1], v9, v1, s[0:1]
	v_lshlrev_b64 v[0:1], 4, v[2:3]
	v_mov_b32_e32 v2, v5
	v_mad_u64_u32 v[2:3], s[0:1], s3, v109, v[2:3]
	v_mad_u64_u32 v[6:7], s[0:1], s2, v108, 0
	v_add_co_u32_e64 v46, s[0:1], v8, v0
	v_mov_b32_e32 v5, v2
	v_mov_b32_e32 v2, v7
	v_addc_co_u32_e64 v47, s[0:1], v9, v1, s[0:1]
	v_lshlrev_b64 v[0:1], 4, v[4:5]
	v_mad_u64_u32 v[2:3], s[0:1], s3, v108, v[2:3]
	v_add_u32_e32 v5, 0x154, v112
	v_mad_u64_u32 v[3:4], s[0:1], s2, v5, 0
	v_add_co_u32_e64 v52, s[0:1], v8, v0
	v_mov_b32_e32 v7, v2
	v_mov_b32_e32 v2, v4
	v_addc_co_u32_e64 v53, s[0:1], v9, v1, s[0:1]
	v_lshlrev_b64 v[0:1], 4, v[6:7]
	v_mad_u64_u32 v[4:5], s[0:1], s3, v5, v[2:3]
	v_add_u32_e32 v7, 0x1a9, v112
	v_mad_u64_u32 v[5:6], s[0:1], s2, v7, 0
	v_add_co_u32_e64 v54, s[0:1], v8, v0
	v_mov_b32_e32 v2, v6
	v_addc_co_u32_e64 v55, s[0:1], v9, v1, s[0:1]
	v_lshlrev_b64 v[0:1], 4, v[3:4]
	v_mad_u64_u32 v[2:3], s[0:1], s3, v7, v[2:3]
	v_add_u32_e32 v7, 0x1fe, v112
	v_mad_u64_u32 v[3:4], s[0:1], s2, v7, 0
	v_add_co_u32_e64 v68, s[0:1], v8, v0
	v_mov_b32_e32 v6, v2
	v_mov_b32_e32 v2, v4
	v_addc_co_u32_e64 v69, s[0:1], v9, v1, s[0:1]
	v_lshlrev_b64 v[0:1], 4, v[5:6]
	v_mad_u64_u32 v[4:5], s[0:1], s3, v7, v[2:3]
	v_add_u32_e32 v7, 0x253, v112
	v_mad_u64_u32 v[5:6], s[0:1], s2, v7, 0
	v_add_co_u32_e64 v70, s[0:1], v8, v0
	;; [unrolled: 15-line block ×6, first 2 shown]
	v_mov_b32_e32 v2, v6
	v_addc_co_u32_e64 v87, s[0:1], v9, v1, s[0:1]
	v_lshlrev_b64 v[0:1], 4, v[3:4]
	v_mad_u64_u32 v[2:3], s[0:1], s3, v7, v[2:3]
	v_add_u32_e32 v7, 0x550, v112
	v_mad_u64_u32 v[3:4], s[0:1], s2, v7, 0
	v_add_co_u32_e64 v88, s[0:1], v8, v0
	v_mov_b32_e32 v6, v2
	v_mov_b32_e32 v2, v4
	v_addc_co_u32_e64 v89, s[0:1], v9, v1, s[0:1]
	v_lshlrev_b64 v[0:1], 4, v[5:6]
	v_mad_u64_u32 v[4:5], s[0:1], s3, v7, v[2:3]
	v_add_co_u32_e64 v90, s[0:1], v8, v0
	v_addc_co_u32_e64 v91, s[0:1], v9, v1, s[0:1]
	v_lshlrev_b64 v[0:1], 4, v[3:4]
	v_mov_b32_e32 v178, v112
	v_add_co_u32_e64 v94, s[0:1], v8, v0
	v_addc_co_u32_e64 v95, s[0:1], v9, v1, s[0:1]
	global_load_dwordx4 v[40:43], v[44:45], off
	global_load_dwordx4 v[64:67], v[46:47], off
	;; [unrolled: 1-line block ×15, first 2 shown]
                                        ; kill: killed $vgpr52 killed $vgpr53
                                        ; kill: killed $vgpr88 killed $vgpr89
                                        ; kill: killed $vgpr72 killed $vgpr73
                                        ; kill: killed $vgpr74 killed $vgpr75
                                        ; kill: killed $vgpr46 killed $vgpr47
                                        ; kill: killed $vgpr76 killed $vgpr77
                                        ; kill: killed $vgpr78 killed $vgpr79
                                        ; kill: killed $vgpr80 killed $vgpr81
                                        ; kill: killed $vgpr44 killed $vgpr45
                                        ; kill: killed $vgpr82 killed $vgpr83
                                        ; kill: killed $vgpr54 killed $vgpr55
                                        ; kill: killed $vgpr84 killed $vgpr85
                                        ; kill: killed $vgpr68 killed $vgpr69
                                        ; kill: killed $vgpr86 killed $vgpr87
                                        ; kill: killed $vgpr70 killed $vgpr71
	global_load_dwordx4 v[52:55], v[90:91], off
	global_load_dwordx4 v[44:47], v[94:95], off
.LBB0_13:
	s_or_b64 exec, exec, s[4:5]
	s_waitcnt vmcnt(0)
	v_add_f64 v[72:73], v[66:67], -v[46:47]
	s_mov_b32 s36, 0xeb564b22
	s_mov_b32 s37, 0xbfefdd0d
	v_add_f64 v[70:71], v[44:45], v[64:65]
	v_add_f64 v[76:77], v[62:63], -v[54:55]
	s_mov_b32 s28, 0x5d8e7cdc
	s_mov_b32 s38, 0x2a9d6da3
	;; [unrolled: 1-line block ×3, first 2 shown]
	v_mul_f64 v[84:85], v[72:73], s[36:37]
	s_mov_b32 s6, 0x3259b75e
	s_mov_b32 s34, 0xacd6c6b4
	;; [unrolled: 1-line block ×7, first 2 shown]
	v_add_f64 v[74:75], v[52:53], v[60:61]
	v_mul_f64 v[78:79], v[72:73], s[28:29]
	v_mul_f64 v[80:81], v[72:73], s[38:39]
	;; [unrolled: 1-line block ×4, first 2 shown]
	v_fma_f64 v[119:120], v[70:71], s[6:7], v[84:85]
	v_fma_f64 v[84:85], v[70:71], s[6:7], -v[84:85]
	s_mov_b32 s14, 0x370991
	s_mov_b32 s20, 0x75d4884
	;; [unrolled: 1-line block ×16, first 2 shown]
	v_mul_f64 v[86:87], v[72:73], s[18:19]
	v_mul_f64 v[88:89], v[72:73], s[22:23]
	;; [unrolled: 1-line block ×8, first 2 shown]
	v_fma_f64 v[113:114], v[70:71], s[14:15], v[78:79]
	v_fma_f64 v[78:79], v[70:71], s[14:15], -v[78:79]
	v_fma_f64 v[115:116], v[70:71], s[20:21], v[80:81]
	v_fma_f64 v[80:81], v[70:71], s[20:21], -v[80:81]
	v_fma_f64 v[117:118], v[70:71], s[4:5], v[82:83]
	v_fma_f64 v[133:134], v[74:75], s[30:31], v[100:101]
	v_fma_f64 v[100:101], v[74:75], s[30:31], -v[100:101]
	v_add_f64 v[84:85], v[40:41], v[84:85]
	s_mov_b32 s10, 0xc61f0d01
	s_mov_b32 s16, 0x6ed5f1bb
	;; [unrolled: 1-line block ×10, first 2 shown]
	v_mul_f64 v[104:105], v[76:77], s[44:45]
	v_mul_f64 v[106:107], v[76:77], s[40:41]
	v_fma_f64 v[82:83], v[70:71], s[4:5], -v[82:83]
	v_fma_f64 v[121:122], v[70:71], s[10:11], v[86:87]
	v_fma_f64 v[86:87], v[70:71], s[10:11], -v[86:87]
	v_fma_f64 v[123:124], v[70:71], s[16:17], v[88:89]
	;; [unrolled: 2-line block ×7, first 2 shown]
	v_fma_f64 v[135:136], v[74:75], s[24:25], v[102:103]
	v_add_f64 v[113:114], v[40:41], v[113:114]
	v_add_f64 v[78:79], v[40:41], v[78:79]
	;; [unrolled: 1-line block ×7, first 2 shown]
	v_fma_f64 v[100:101], v[74:75], s[24:25], -v[102:103]
	v_add_f64 v[102:103], v[58:59], -v[50:51]
	s_mov_b32 s47, 0x3fd71e95
	s_mov_b32 s46, s28
	v_add_f64 v[68:69], v[64:65], v[40:41]
	v_add_f64 v[82:83], v[40:41], v[82:83]
	;; [unrolled: 1-line block ×16, first 2 shown]
	v_fma_f64 v[113:114], v[74:75], s[10:11], v[104:105]
	v_fma_f64 v[115:116], v[74:75], s[4:5], v[106:107]
	v_mul_f64 v[76:77], v[76:77], s[46:47]
	v_add_f64 v[117:118], v[48:49], v[56:57]
	v_mul_f64 v[119:120], v[102:103], s[42:43]
	v_fma_f64 v[106:107], v[74:75], s[4:5], -v[106:107]
	v_fma_f64 v[98:99], v[74:75], s[16:17], -v[98:99]
	;; [unrolled: 1-line block ×3, first 2 shown]
	v_add_f64 v[86:87], v[100:101], v[86:87]
	v_add_f64 v[100:101], v[113:114], v[123:124]
	v_fma_f64 v[113:114], v[74:75], s[14:15], v[76:77]
	v_fma_f64 v[74:75], v[74:75], s[14:15], -v[76:77]
	v_fma_f64 v[76:77], v[117:118], s[4:5], v[119:120]
	v_add_f64 v[90:91], v[106:107], v[90:91]
	v_mul_f64 v[106:107], v[102:103], s[22:23]
	s_mov_b32 s57, 0x3fc7851a
	s_mov_b32 s56, s34
	;; [unrolled: 1-line block ×4, first 2 shown]
	v_add_f64 v[88:89], v[104:105], v[88:89]
	v_add_f64 v[104:105], v[115:116], v[125:126]
	v_mul_f64 v[115:116], v[102:103], s[56:57]
	v_add_f64 v[40:41], v[74:75], v[40:41]
	v_add_f64 v[70:71], v[76:77], v[70:71]
	v_fma_f64 v[74:75], v[117:118], s[4:5], -v[119:120]
	v_fma_f64 v[76:77], v[117:118], s[16:17], v[106:107]
	v_mul_f64 v[119:120], v[102:103], s[44:45]
	v_fma_f64 v[106:107], v[117:118], s[16:17], -v[106:107]
	v_mul_f64 v[123:124], v[102:103], s[48:49]
	v_add_f64 v[82:83], v[98:99], v[82:83]
	v_add_f64 v[98:99], v[135:136], v[121:122]
	v_fma_f64 v[121:122], v[117:118], s[30:31], v[115:116]
	v_add_f64 v[72:73], v[74:75], v[72:73]
	v_fma_f64 v[74:75], v[117:118], s[30:31], -v[115:116]
	v_fma_f64 v[115:116], v[117:118], s[10:11], v[119:120]
	v_add_f64 v[76:77], v[76:77], v[78:79]
	v_add_f64 v[78:79], v[106:107], v[80:81]
	v_fma_f64 v[80:81], v[117:118], s[10:11], -v[119:120]
	v_fma_f64 v[106:107], v[117:118], s[20:21], v[123:124]
	v_mul_f64 v[119:120], v[102:103], s[28:29]
	v_add_f64 v[113:114], v[113:114], v[127:128]
	v_add_f64 v[74:75], v[74:75], v[82:83]
	;; [unrolled: 1-line block ×3, first 2 shown]
	v_mul_f64 v[96:97], v[102:103], s[36:37]
	v_fma_f64 v[115:116], v[117:118], s[20:21], -v[123:124]
	v_add_f64 v[80:81], v[80:81], v[84:85]
	v_add_f64 v[84:85], v[34:35], -v[38:39]
	v_add_f64 v[98:99], v[106:107], v[98:99]
	v_fma_f64 v[106:107], v[117:118], s[14:15], v[119:120]
	v_mul_f64 v[102:103], v[102:103], s[26:27]
	v_add_f64 v[94:95], v[121:122], v[94:95]
	v_fma_f64 v[119:120], v[117:118], s[14:15], -v[119:120]
	v_fma_f64 v[121:122], v[117:118], s[6:7], v[96:97]
	v_add_f64 v[86:87], v[115:116], v[86:87]
	v_add_f64 v[115:116], v[36:37], v[32:33]
	v_mul_f64 v[123:124], v[84:85], s[36:37]
	v_fma_f64 v[96:97], v[117:118], s[6:7], -v[96:97]
	v_add_f64 v[100:101], v[106:107], v[100:101]
	v_fma_f64 v[106:107], v[117:118], s[24:25], v[102:103]
	v_add_f64 v[88:89], v[119:120], v[88:89]
	v_add_f64 v[104:105], v[121:122], v[104:105]
	v_mul_f64 v[121:122], v[84:85], s[46:47]
	v_fma_f64 v[102:103], v[117:118], s[24:25], -v[102:103]
	v_fma_f64 v[119:120], v[115:116], s[6:7], v[123:124]
	v_add_f64 v[90:91], v[96:97], v[90:91]
	v_mul_f64 v[96:97], v[84:85], s[44:45]
	v_add_f64 v[106:107], v[106:107], v[113:114]
	v_fma_f64 v[113:114], v[115:116], s[6:7], -v[123:124]
	v_mul_f64 v[117:118], v[84:85], s[34:35]
	v_mul_f64 v[123:124], v[84:85], s[42:43]
	v_add_f64 v[40:41], v[102:103], v[40:41]
	v_add_f64 v[70:71], v[119:120], v[70:71]
	s_mov_b32 s55, 0x3fe9895b
	v_fma_f64 v[119:120], v[115:116], s[10:11], v[96:97]
	v_fma_f64 v[96:97], v[115:116], s[10:11], -v[96:97]
	v_add_f64 v[72:73], v[113:114], v[72:73]
	v_fma_f64 v[113:114], v[115:116], s[14:15], v[121:122]
	v_fma_f64 v[102:103], v[115:116], s[30:31], v[117:118]
	v_fma_f64 v[117:118], v[115:116], s[30:31], -v[117:118]
	s_mov_b32 s54, s22
	s_mov_b32 s53, 0x3fefdd0d
	v_add_f64 v[94:95], v[119:120], v[94:95]
	v_add_f64 v[74:75], v[96:97], v[74:75]
	v_fma_f64 v[96:97], v[115:116], s[14:15], -v[121:122]
	v_add_f64 v[82:83], v[113:114], v[82:83]
	v_fma_f64 v[113:114], v[115:116], s[4:5], v[123:124]
	v_add_f64 v[76:77], v[102:103], v[76:77]
	v_mul_f64 v[102:103], v[84:85], s[26:27]
	v_add_f64 v[78:79], v[117:118], v[78:79]
	v_fma_f64 v[117:118], v[115:116], s[4:5], -v[123:124]
	v_mul_f64 v[121:122], v[84:85], s[54:55]
	v_add_f64 v[80:81], v[96:97], v[80:81]
	v_mul_f64 v[84:85], v[84:85], s[48:49]
	v_add_f64 v[96:97], v[113:114], v[98:99]
	v_add_f64 v[98:99], v[26:27], -v[30:31]
	v_fma_f64 v[119:120], v[115:116], s[24:25], v[102:103]
	v_fma_f64 v[102:103], v[115:116], s[24:25], -v[102:103]
	v_add_f64 v[86:87], v[117:118], v[86:87]
	v_fma_f64 v[113:114], v[115:116], s[16:17], v[121:122]
	v_fma_f64 v[117:118], v[115:116], s[16:17], -v[121:122]
	v_add_f64 v[121:122], v[28:29], v[24:25]
	s_mov_b32 s52, s36
	v_mul_f64 v[123:124], v[98:99], s[18:19]
	v_add_f64 v[100:101], v[119:120], v[100:101]
	v_fma_f64 v[119:120], v[115:116], s[20:21], v[84:85]
	v_fma_f64 v[84:85], v[115:116], s[20:21], -v[84:85]
	v_add_f64 v[88:89], v[102:103], v[88:89]
	v_mul_f64 v[102:103], v[98:99], s[50:51]
	v_add_f64 v[104:105], v[113:114], v[104:105]
	v_mul_f64 v[113:114], v[98:99], s[48:49]
	v_fma_f64 v[115:116], v[121:122], s[10:11], v[123:124]
	v_add_f64 v[90:91], v[117:118], v[90:91]
	v_add_f64 v[106:107], v[119:120], v[106:107]
	;; [unrolled: 1-line block ×3, first 2 shown]
	v_fma_f64 v[84:85], v[121:122], s[10:11], -v[123:124]
	v_fma_f64 v[117:118], v[121:122], s[24:25], v[102:103]
	v_fma_f64 v[102:103], v[121:122], s[24:25], -v[102:103]
	v_fma_f64 v[119:120], v[121:122], s[20:21], v[113:114]
	v_mul_f64 v[123:124], v[98:99], s[42:43]
	v_fma_f64 v[113:114], v[121:122], s[20:21], -v[113:114]
	v_add_f64 v[70:71], v[115:116], v[70:71]
	v_mul_f64 v[115:116], v[98:99], s[34:35]
	v_add_f64 v[72:73], v[84:85], v[72:73]
	v_add_f64 v[76:77], v[117:118], v[76:77]
	;; [unrolled: 1-line block ×4, first 2 shown]
	v_fma_f64 v[94:95], v[121:122], s[4:5], v[123:124]
	v_add_f64 v[74:75], v[113:114], v[74:75]
	v_fma_f64 v[102:103], v[121:122], s[4:5], -v[123:124]
	v_fma_f64 v[113:114], v[121:122], s[30:31], v[115:116]
	v_mul_f64 v[117:118], v[98:99], s[52:53]
	v_add_f64 v[68:69], v[60:61], v[68:69]
	v_fma_f64 v[115:116], v[121:122], s[30:31], -v[115:116]
	v_add_f64 v[119:120], v[20:21], v[16:17]
	v_add_f64 v[82:83], v[94:95], v[82:83]
	v_mul_f64 v[94:95], v[98:99], s[28:29]
	v_add_f64 v[80:81], v[102:103], v[80:81]
	v_add_f64 v[96:97], v[113:114], v[96:97]
	v_add_f64 v[102:103], v[18:19], -v[22:23]
	v_mul_f64 v[98:99], v[98:99], s[22:23]
	v_fma_f64 v[113:114], v[121:122], s[6:7], v[117:118]
	v_add_f64 v[68:69], v[56:57], v[68:69]
	v_add_f64 v[86:87], v[115:116], v[86:87]
	v_fma_f64 v[115:116], v[121:122], s[6:7], -v[117:118]
	v_fma_f64 v[117:118], v[121:122], s[14:15], v[94:95]
	v_fma_f64 v[94:95], v[121:122], s[14:15], -v[94:95]
	v_mul_f64 v[123:124], v[102:103], s[22:23]
	v_fma_f64 v[125:126], v[121:122], s[16:17], v[98:99]
	v_add_f64 v[100:101], v[113:114], v[100:101]
	v_fma_f64 v[98:99], v[121:122], s[16:17], -v[98:99]
	v_mul_f64 v[113:114], v[102:103], s[44:45]
	v_add_f64 v[68:69], v[32:33], v[68:69]
	v_add_f64 v[104:105], v[117:118], v[104:105]
	;; [unrolled: 1-line block ×3, first 2 shown]
	v_fma_f64 v[94:95], v[119:120], s[16:17], v[123:124]
	v_mul_f64 v[117:118], v[102:103], s[26:27]
	v_add_f64 v[88:89], v[115:116], v[88:89]
	v_add_f64 v[40:41], v[98:99], v[40:41]
	v_fma_f64 v[98:99], v[119:120], s[16:17], -v[123:124]
	v_fma_f64 v[121:122], v[119:120], s[10:11], v[113:114]
	v_fma_f64 v[113:114], v[119:120], s[10:11], -v[113:114]
	v_mul_f64 v[115:116], v[102:103], s[28:29]
	v_add_f64 v[68:69], v[24:25], v[68:69]
	v_add_f64 v[70:71], v[94:95], v[70:71]
	v_mul_f64 v[94:95], v[102:103], s[52:53]
	v_add_f64 v[106:107], v[125:126], v[106:107]
	v_add_f64 v[72:73], v[98:99], v[72:73]
	v_fma_f64 v[98:99], v[119:120], s[24:25], v[117:118]
	v_add_f64 v[78:79], v[113:114], v[78:79]
	v_fma_f64 v[113:114], v[119:120], s[24:25], -v[117:118]
	v_fma_f64 v[123:124], v[119:120], s[14:15], v[115:116]
	v_fma_f64 v[115:116], v[119:120], s[14:15], -v[115:116]
	v_add_f64 v[68:69], v[16:17], v[68:69]
	v_fma_f64 v[117:118], v[119:120], s[6:7], v[94:95]
	v_fma_f64 v[94:95], v[119:120], s[6:7], -v[94:95]
	v_add_f64 v[82:83], v[98:99], v[82:83]
	v_mul_f64 v[98:99], v[102:103], s[34:35]
	v_add_f64 v[80:81], v[113:114], v[80:81]
	v_add_f64 v[113:114], v[10:11], -v[14:15]
	v_add_f64 v[74:75], v[115:116], v[74:75]
	v_mul_f64 v[115:116], v[102:103], s[38:39]
	v_mul_f64 v[102:103], v[102:103], s[40:41]
	v_add_f64 v[68:69], v[8:9], v[68:69]
	v_add_f64 v[76:77], v[121:122], v[76:77]
	;; [unrolled: 1-line block ×4, first 2 shown]
	v_fma_f64 v[94:95], v[119:120], s[30:31], v[98:99]
	v_fma_f64 v[98:99], v[119:120], s[30:31], -v[98:99]
	v_add_f64 v[121:122], v[12:13], v[8:9]
	v_mul_f64 v[123:124], v[113:114], s[26:27]
	v_add_f64 v[96:97], v[117:118], v[96:97]
	v_fma_f64 v[117:118], v[119:120], s[20:21], v[115:116]
	v_fma_f64 v[115:116], v[119:120], s[20:21], -v[115:116]
	v_fma_f64 v[125:126], v[119:120], s[4:5], v[102:103]
	v_fma_f64 v[102:103], v[119:120], s[4:5], -v[102:103]
	v_add_f64 v[68:69], v[0:1], v[68:69]
	v_add_f64 v[94:95], v[94:95], v[104:105]
	v_mul_f64 v[104:105], v[113:114], s[40:41]
	v_add_f64 v[90:91], v[98:99], v[90:91]
	v_fma_f64 v[98:99], v[121:122], s[24:25], v[123:124]
	v_add_f64 v[100:101], v[117:118], v[100:101]
	v_add_f64 v[88:89], v[115:116], v[88:89]
	v_mul_f64 v[115:116], v[113:114], s[36:37]
	v_fma_f64 v[117:118], v[121:122], s[24:25], -v[123:124]
	v_add_f64 v[40:41], v[102:103], v[40:41]
	v_mul_f64 v[102:103], v[113:114], s[54:55]
	v_add_f64 v[68:69], v[4:5], v[68:69]
	v_fma_f64 v[119:120], v[121:122], s[4:5], v[104:105]
	v_fma_f64 v[104:105], v[121:122], s[4:5], -v[104:105]
	v_add_f64 v[70:71], v[98:99], v[70:71]
	v_mul_f64 v[98:99], v[113:114], s[28:29]
	v_fma_f64 v[123:124], v[121:122], s[6:7], v[115:116]
	v_add_f64 v[72:73], v[117:118], v[72:73]
	v_fma_f64 v[115:116], v[121:122], s[6:7], -v[115:116]
	v_fma_f64 v[117:118], v[121:122], s[16:17], v[102:103]
	v_fma_f64 v[102:103], v[121:122], s[16:17], -v[102:103]
	v_add_f64 v[68:69], v[12:13], v[68:69]
	v_add_f64 v[76:77], v[119:120], v[76:77]
	;; [unrolled: 1-line block ×3, first 2 shown]
	v_fma_f64 v[104:105], v[121:122], s[14:15], v[98:99]
	v_mul_f64 v[119:120], v[113:114], s[34:35]
	v_add_f64 v[74:75], v[115:116], v[74:75]
	v_fma_f64 v[98:99], v[121:122], s[14:15], -v[98:99]
	v_mul_f64 v[115:116], v[113:114], s[48:49]
	v_add_f64 v[80:81], v[102:103], v[80:81]
	v_add_f64 v[102:103], v[2:3], -v[6:7]
	v_add_f64 v[68:69], v[20:21], v[68:69]
	v_add_f64 v[82:83], v[117:118], v[82:83]
	;; [unrolled: 1-line block ×3, first 2 shown]
	v_fma_f64 v[104:105], v[121:122], s[30:31], v[119:120]
	v_fma_f64 v[117:118], v[121:122], s[30:31], -v[119:120]
	v_mul_f64 v[113:114], v[113:114], s[18:19]
	v_add_f64 v[84:85], v[123:124], v[84:85]
	v_add_f64 v[86:87], v[98:99], v[86:87]
	v_fma_f64 v[98:99], v[121:122], s[20:21], v[115:116]
	v_fma_f64 v[115:116], v[121:122], s[20:21], -v[115:116]
	v_add_f64 v[119:120], v[4:5], v[0:1]
	v_mul_f64 v[123:124], v[102:103], s[34:35]
	v_add_f64 v[68:69], v[28:29], v[68:69]
	v_add_f64 v[106:107], v[125:126], v[106:107]
	;; [unrolled: 1-line block ×4, first 2 shown]
	v_fma_f64 v[104:105], v[121:122], s[10:11], v[113:114]
	v_mul_f64 v[117:118], v[102:103], s[46:47]
	v_add_f64 v[98:99], v[98:99], v[94:95]
	v_add_f64 v[90:91], v[115:116], v[90:91]
	v_fma_f64 v[94:95], v[121:122], s[10:11], -v[113:114]
	v_fma_f64 v[113:114], v[119:120], s[30:31], v[123:124]
	v_mul_f64 v[115:116], v[102:103], s[26:27]
	v_fma_f64 v[121:122], v[119:120], s[30:31], -v[123:124]
	v_add_f64 v[68:69], v[36:37], v[68:69]
	v_add_f64 v[104:105], v[104:105], v[106:107]
	v_fma_f64 v[106:107], v[119:120], s[14:15], v[117:118]
	v_fma_f64 v[117:118], v[119:120], s[14:15], -v[117:118]
	v_mul_f64 v[123:124], v[102:103], s[48:49]
	v_add_f64 v[125:126], v[94:95], v[40:41]
	v_add_f64 v[70:71], v[113:114], v[70:71]
	v_fma_f64 v[113:114], v[119:120], s[24:25], v[115:116]
	v_add_f64 v[94:95], v[121:122], v[72:73]
	v_fma_f64 v[72:73], v[119:120], s[24:25], -v[115:116]
	v_add_f64 v[68:69], v[48:49], v[68:69]
	v_add_f64 v[40:41], v[117:118], v[78:79]
	v_fma_f64 v[78:79], v[119:120], s[20:21], v[123:124]
	v_mul_f64 v[115:116], v[102:103], s[22:23]
	v_add_f64 v[76:77], v[106:107], v[76:77]
	v_fma_f64 v[106:107], v[119:120], s[20:21], -v[123:124]
	v_add_f64 v[84:85], v[113:114], v[84:85]
	v_mul_f64 v[113:114], v[102:103], s[40:41]
	v_add_f64 v[72:73], v[72:73], v[74:75]
	v_mul_f64 v[74:75], v[102:103], s[18:19]
	v_mul_f64 v[102:103], v[102:103], s[52:53]
	v_add_f64 v[68:69], v[52:53], v[68:69]
	v_add_f64 v[78:79], v[78:79], v[82:83]
	v_fma_f64 v[82:83], v[119:120], s[16:17], v[115:116]
	v_add_f64 v[80:81], v[106:107], v[80:81]
	v_fma_f64 v[106:107], v[119:120], s[16:17], -v[115:116]
	v_fma_f64 v[115:116], v[119:120], s[4:5], v[113:114]
	v_fma_f64 v[117:118], v[119:120], s[10:11], v[74:75]
	;; [unrolled: 1-line block ×3, first 2 shown]
	v_fma_f64 v[102:103], v[119:120], s[6:7], -v[102:103]
	v_fma_f64 v[113:114], v[119:120], s[4:5], -v[113:114]
	;; [unrolled: 1-line block ×3, first 2 shown]
	v_add_f64 v[68:69], v[44:45], v[68:69]
	v_add_f64 v[82:83], v[82:83], v[96:97]
	v_add_f64 v[96:97], v[115:116], v[100:101]
	v_add_f64 v[98:99], v[117:118], v[98:99]
	v_add_f64 v[100:101], v[121:122], v[104:105]
	v_add_f64 v[102:103], v[102:103], v[125:126]
	v_add_f64 v[88:89], v[113:114], v[88:89]
	v_add_f64 v[74:75], v[74:75], v[90:91]
	v_add_f64 v[86:87], v[106:107], v[86:87]
	s_movk_i32 s0, 0x88
	v_mad_u32_u24 v111, v112, s0, 0
	ds_write2_b64 v111, v[68:69], v[70:71] offset1:1
	ds_write2_b64 v111, v[76:77], v[84:85] offset0:2 offset1:3
	ds_write2_b64 v111, v[78:79], v[82:83] offset0:4 offset1:5
	;; [unrolled: 1-line block ×7, first 2 shown]
	ds_write_b64 v111, v[94:95] offset:128
	v_lshlrev_b32_e32 v102, 7, v112
	v_sub_u32_e32 v96, v111, v102
	v_add_u32_e32 v68, 0x800, v96
	v_add_u32_e32 v72, 0x1800, v96
	;; [unrolled: 1-line block ×3, first 2 shown]
	s_waitcnt lgkmcnt(0)
	s_barrier
	ds_read2_b64 v[80:83], v68 offset0:33 offset1:118
	v_add_u32_e32 v68, 0xc00, v96
	ds_read2_b64 v[88:91], v72 offset0:99 offset1:184
	v_add_u32_e32 v72, 0x2000, v96
	v_lshl_add_u32 v113, v110, 3, 0
	ds_read2_b64 v[84:87], v76 offset0:151 offset1:236
	v_add_u32_e32 v76, 0x2400, v96
	ds_read2_b64 v[68:71], v68 offset0:75 offset1:194
	ds_read2_b64 v[72:75], v72 offset0:13 offset1:132
	ds_read_b64 v[98:99], v113
	ds_read2_b64 v[76:79], v76 offset0:89 offset1:174
	v_lshl_add_u32 v114, v109, 3, 0
	ds_read_b64 v[100:101], v96
	ds_read_b64 v[96:97], v114
	v_sub_u32_e32 v102, 0, v102
	v_cmp_gt_u32_e64 s[0:1], 34, v112
	v_add_u32_e32 v115, v111, v102
	v_lshl_add_u32 v116, v108, 3, 0
                                        ; implicit-def: $vgpr102_vgpr103
                                        ; implicit-def: $vgpr104_vgpr105
                                        ; implicit-def: $vgpr106_vgpr107
	s_and_saveexec_b64 s[58:59], s[0:1]
	s_cbranch_execz .LBB0_15
; %bb.14:
	ds_read_b64 v[40:41], v116
	ds_read_b64 v[94:95], v115 offset:4352
	ds_read_b64 v[106:107], v115 offset:6664
	;; [unrolled: 1-line block ×4, first 2 shown]
.LBB0_15:
	s_or_b64 exec, exec, s[58:59]
	v_add_f64 v[117:118], v[66:67], v[42:43]
	v_add_f64 v[48:49], v[56:57], -v[48:49]
	v_add_f64 v[44:45], v[64:65], -v[44:45]
	v_add_f64 v[64:65], v[46:47], v[66:67]
	v_add_f64 v[66:67], v[54:55], v[62:63]
	v_add_f64 v[52:53], v[60:61], -v[52:53]
	v_add_f64 v[60:61], v[50:51], v[58:59]
	v_add_f64 v[32:33], v[32:33], -v[36:37]
	v_add_f64 v[56:57], v[62:63], v[117:118]
	v_mul_f64 v[141:142], v[48:49], s[42:43]
	v_mul_f64 v[62:63], v[44:45], s[28:29]
	;; [unrolled: 1-line block ×7, first 2 shown]
	v_add_f64 v[56:57], v[58:59], v[56:57]
	v_mul_f64 v[127:128], v[44:45], s[26:27]
	v_mul_f64 v[44:45], v[44:45], s[34:35]
	v_fma_f64 v[151:152], v[64:65], s[14:15], -v[62:63]
	v_fma_f64 v[62:63], v[64:65], s[14:15], v[62:63]
	v_fma_f64 v[153:154], v[64:65], s[20:21], -v[117:118]
	v_fma_f64 v[117:118], v[64:65], s[20:21], v[117:118]
	v_fma_f64 v[155:156], v[64:65], s[4:5], -v[119:120]
	v_add_f64 v[56:57], v[34:35], v[56:57]
	v_fma_f64 v[119:120], v[64:65], s[4:5], v[119:120]
	v_fma_f64 v[157:158], v[64:65], s[6:7], -v[121:122]
	v_fma_f64 v[121:122], v[64:65], s[6:7], v[121:122]
	v_fma_f64 v[159:160], v[64:65], s[10:11], -v[123:124]
	;; [unrolled: 2-line block ×3, first 2 shown]
	v_fma_f64 v[125:126], v[64:65], s[16:17], v[125:126]
	v_add_f64 v[56:57], v[26:27], v[56:57]
	v_fma_f64 v[163:164], v[64:65], s[24:25], -v[127:128]
	v_fma_f64 v[127:128], v[64:65], s[24:25], v[127:128]
	v_fma_f64 v[165:166], v[64:65], s[30:31], -v[44:45]
	v_fma_f64 v[44:45], v[64:65], s[30:31], v[44:45]
	v_mul_f64 v[58:59], v[52:53], s[38:39]
	v_mul_f64 v[129:130], v[52:53], s[36:37]
	;; [unrolled: 1-line block ×3, first 2 shown]
	v_add_f64 v[56:57], v[18:19], v[56:57]
	v_mul_f64 v[133:134], v[52:53], s[34:35]
	v_add_f64 v[151:152], v[42:43], v[151:152]
	v_add_f64 v[62:63], v[42:43], v[62:63]
	;; [unrolled: 1-line block ×18, first 2 shown]
	v_mul_f64 v[135:136], v[52:53], s[50:51]
	v_mul_f64 v[137:138], v[52:53], s[44:45]
	;; [unrolled: 1-line block ×4, first 2 shown]
	v_add_f64 v[56:57], v[6:7], v[56:57]
	v_mul_f64 v[143:144], v[48:49], s[22:23]
	v_mul_f64 v[145:146], v[48:49], s[56:57]
	;; [unrolled: 1-line block ×3, first 2 shown]
	v_fma_f64 v[64:65], v[66:67], s[20:21], -v[58:59]
	v_fma_f64 v[58:59], v[66:67], s[20:21], v[58:59]
	v_fma_f64 v[167:168], v[66:67], s[6:7], -v[129:130]
	v_fma_f64 v[129:130], v[66:67], s[6:7], v[129:130]
	v_add_f64 v[56:57], v[14:15], v[56:57]
	v_fma_f64 v[169:170], v[66:67], s[16:17], -v[131:132]
	v_fma_f64 v[131:132], v[66:67], s[16:17], v[131:132]
	v_fma_f64 v[171:172], v[66:67], s[30:31], -v[133:134]
	v_mul_f64 v[149:150], v[48:49], s[48:49]
	v_fma_f64 v[133:134], v[66:67], s[30:31], v[133:134]
	v_fma_f64 v[173:174], v[66:67], s[24:25], -v[135:136]
	v_fma_f64 v[135:136], v[66:67], s[24:25], v[135:136]
	v_add_f64 v[56:57], v[22:23], v[56:57]
	v_fma_f64 v[175:176], v[66:67], s[10:11], -v[137:138]
	v_fma_f64 v[137:138], v[66:67], s[10:11], v[137:138]
	v_fma_f64 v[179:180], v[66:67], s[4:5], -v[139:140]
	v_fma_f64 v[139:140], v[66:67], s[4:5], v[139:140]
	;; [unrolled: 2-line block ×3, first 2 shown]
	v_fma_f64 v[66:67], v[60:61], s[4:5], -v[141:142]
	v_add_f64 v[56:57], v[30:31], v[56:57]
	v_fma_f64 v[141:142], v[60:61], s[4:5], v[141:142]
	v_fma_f64 v[183:184], v[60:61], s[16:17], -v[143:144]
	v_fma_f64 v[143:144], v[60:61], s[16:17], v[143:144]
	v_fma_f64 v[185:186], v[60:61], s[30:31], -v[145:146]
	;; [unrolled: 2-line block ×3, first 2 shown]
	v_add_f64 v[58:59], v[58:59], v[62:63]
	v_add_f64 v[44:45], v[38:39], v[56:57]
	;; [unrolled: 1-line block ×16, first 2 shown]
	v_mul_f64 v[66:67], v[48:49], s[28:29]
	v_add_f64 v[44:45], v[54:55], v[44:45]
	v_fma_f64 v[117:118], v[60:61], s[20:21], v[149:150]
	v_add_f64 v[131:132], v[175:176], v[161:162]
	v_add_f64 v[125:126], v[137:138], v[125:126]
	;; [unrolled: 1-line block ×3, first 2 shown]
	v_mul_f64 v[36:37], v[48:49], s[26:27]
	v_add_f64 v[34:35], v[38:39], v[34:35]
	v_mul_f64 v[38:39], v[32:33], s[36:37]
	v_add_f64 v[44:45], v[46:47], v[44:45]
	v_add_f64 v[46:47], v[145:146], v[119:120]
	;; [unrolled: 1-line block ×3, first 2 shown]
	v_mul_f64 v[129:130], v[48:49], s[36:37]
	v_fma_f64 v[48:49], v[60:61], s[14:15], -v[66:67]
	v_add_f64 v[117:118], v[117:118], v[123:124]
	v_fma_f64 v[66:67], v[60:61], s[14:15], v[66:67]
	v_fma_f64 v[147:148], v[60:61], s[10:11], v[147:148]
	v_fma_f64 v[189:190], v[60:61], s[20:21], -v[149:150]
	v_add_f64 v[50:51], v[133:134], v[121:122]
	v_add_f64 v[133:134], v[179:180], v[163:164]
	v_fma_f64 v[123:124], v[60:61], s[6:7], -v[129:130]
	v_fma_f64 v[129:130], v[60:61], s[6:7], v[129:130]
	v_fma_f64 v[135:136], v[60:61], s[24:25], -v[36:37]
	v_add_f64 v[48:49], v[48:49], v[131:132]
	v_fma_f64 v[36:37], v[60:61], s[24:25], v[36:37]
	v_add_f64 v[60:61], v[66:67], v[125:126]
	v_mul_f64 v[66:67], v[32:33], s[34:35]
	v_mul_f64 v[131:132], v[32:33], s[46:47]
	v_add_f64 v[121:122], v[173:174], v[159:160]
	v_add_f64 v[125:126], v[129:130], v[127:128]
	v_fma_f64 v[127:128], v[34:35], s[6:7], -v[38:39]
	v_mul_f64 v[129:130], v[32:33], s[44:45]
	v_fma_f64 v[38:39], v[34:35], s[6:7], v[38:39]
	v_add_f64 v[123:124], v[123:124], v[133:134]
	v_add_f64 v[36:37], v[36:37], v[42:43]
	v_fma_f64 v[42:43], v[34:35], s[30:31], -v[66:67]
	v_fma_f64 v[66:67], v[34:35], s[30:31], v[66:67]
	v_add_f64 v[50:51], v[147:148], v[50:51]
	v_add_f64 v[52:53], v[127:128], v[52:53]
	v_mul_f64 v[127:128], v[32:33], s[42:43]
	v_fma_f64 v[133:134], v[34:35], s[10:11], -v[129:130]
	v_fma_f64 v[129:130], v[34:35], s[10:11], v[129:130]
	v_add_f64 v[38:39], v[38:39], v[56:57]
	v_fma_f64 v[56:57], v[34:35], s[14:15], -v[131:132]
	v_add_f64 v[121:122], v[189:190], v[121:122]
	v_add_f64 v[42:43], v[42:43], v[58:59]
	;; [unrolled: 1-line block ×3, first 2 shown]
	v_fma_f64 v[62:63], v[34:35], s[14:15], v[131:132]
	v_fma_f64 v[66:67], v[34:35], s[4:5], -v[127:128]
	v_add_f64 v[46:47], v[129:130], v[46:47]
	v_mul_f64 v[129:130], v[32:33], s[26:27]
	v_fma_f64 v[127:128], v[34:35], s[4:5], v[127:128]
	v_add_f64 v[56:57], v[56:57], v[119:120]
	v_mul_f64 v[119:120], v[32:33], s[54:55]
	v_add_f64 v[24:25], v[24:25], -v[28:29]
	v_add_f64 v[50:51], v[62:63], v[50:51]
	v_add_f64 v[62:63], v[66:67], v[121:122]
	v_mul_f64 v[28:29], v[32:33], s[48:49]
	v_fma_f64 v[32:33], v[34:35], s[24:25], -v[129:130]
	v_add_f64 v[66:67], v[127:128], v[117:118]
	v_fma_f64 v[117:118], v[34:35], s[24:25], v[129:130]
	v_fma_f64 v[121:122], v[34:35], s[16:17], -v[119:120]
	v_fma_f64 v[119:120], v[34:35], s[16:17], v[119:120]
	v_add_f64 v[26:27], v[30:31], v[26:27]
	v_mul_f64 v[30:31], v[24:25], s[18:19]
	v_fma_f64 v[127:128], v[34:35], s[20:21], -v[28:29]
	v_add_f64 v[32:33], v[32:33], v[48:49]
	v_fma_f64 v[28:29], v[34:35], s[20:21], v[28:29]
	v_add_f64 v[34:35], v[117:118], v[60:61]
	v_mul_f64 v[48:49], v[24:25], s[50:51]
	v_add_f64 v[60:61], v[121:122], v[123:124]
	v_add_f64 v[117:118], v[119:120], v[125:126]
	v_fma_f64 v[119:120], v[26:27], s[10:11], -v[30:31]
	v_mul_f64 v[121:122], v[24:25], s[48:49]
	v_fma_f64 v[30:31], v[26:27], s[10:11], v[30:31]
	v_mul_f64 v[123:124], v[24:25], s[42:43]
	v_add_f64 v[28:29], v[28:29], v[36:37]
	v_fma_f64 v[36:37], v[26:27], s[24:25], -v[48:49]
	v_fma_f64 v[48:49], v[26:27], s[24:25], v[48:49]
	v_add_f64 v[16:17], v[16:17], -v[20:21]
	v_add_f64 v[52:53], v[119:120], v[52:53]
	v_mul_f64 v[119:120], v[24:25], s[34:35]
	v_fma_f64 v[125:126], v[26:27], s[20:21], -v[121:122]
	v_fma_f64 v[121:122], v[26:27], s[20:21], v[121:122]
	v_add_f64 v[30:31], v[30:31], v[38:39]
	v_fma_f64 v[38:39], v[26:27], s[4:5], -v[123:124]
	v_add_f64 v[36:37], v[36:37], v[42:43]
	v_add_f64 v[42:43], v[48:49], v[58:59]
	v_fma_f64 v[48:49], v[26:27], s[4:5], v[123:124]
	v_fma_f64 v[58:59], v[26:27], s[30:31], -v[119:120]
	v_fma_f64 v[119:120], v[26:27], s[30:31], v[119:120]
	v_add_f64 v[46:47], v[121:122], v[46:47]
	v_mul_f64 v[121:122], v[24:25], s[52:53]
	v_add_f64 v[38:39], v[38:39], v[56:57]
	v_mul_f64 v[56:57], v[24:25], s[28:29]
	v_mul_f64 v[20:21], v[24:25], s[22:23]
	v_add_f64 v[48:49], v[48:49], v[50:51]
	v_add_f64 v[50:51], v[58:59], v[62:63]
	;; [unrolled: 1-line block ×4, first 2 shown]
	v_fma_f64 v[24:25], v[26:27], s[6:7], -v[121:122]
	v_fma_f64 v[62:63], v[26:27], s[6:7], v[121:122]
	v_fma_f64 v[66:67], v[26:27], s[14:15], -v[56:57]
	v_mul_f64 v[22:23], v[16:17], s[22:23]
	v_fma_f64 v[119:120], v[26:27], s[16:17], -v[20:21]
	v_fma_f64 v[20:21], v[26:27], s[16:17], v[20:21]
	v_add_f64 v[54:55], v[181:182], v[165:166]
	v_fma_f64 v[56:57], v[26:27], s[14:15], v[56:57]
	v_add_f64 v[24:25], v[24:25], v[32:33]
	v_add_f64 v[26:27], v[62:63], v[34:35]
	;; [unrolled: 1-line block ×3, first 2 shown]
	v_mul_f64 v[34:35], v[16:17], s[44:45]
	v_fma_f64 v[60:61], v[18:19], s[16:17], -v[22:23]
	v_mul_f64 v[62:63], v[16:17], s[28:29]
	v_add_f64 v[20:21], v[20:21], v[28:29]
	v_fma_f64 v[22:23], v[18:19], s[16:17], v[22:23]
	v_mul_f64 v[28:29], v[16:17], s[26:27]
	v_add_f64 v[54:55], v[135:136], v[54:55]
	v_add_f64 v[56:57], v[56:57], v[117:118]
	v_fma_f64 v[66:67], v[18:19], s[10:11], -v[34:35]
	v_fma_f64 v[34:35], v[18:19], s[10:11], v[34:35]
	v_add_f64 v[52:53], v[60:61], v[52:53]
	v_mul_f64 v[60:61], v[16:17], s[52:53]
	v_fma_f64 v[117:118], v[18:19], s[14:15], -v[62:63]
	v_fma_f64 v[62:63], v[18:19], s[14:15], v[62:63]
	v_add_f64 v[22:23], v[22:23], v[30:31]
	v_fma_f64 v[30:31], v[18:19], s[24:25], -v[28:29]
	v_add_f64 v[54:55], v[127:128], v[54:55]
	v_add_f64 v[34:35], v[34:35], v[42:43]
	v_fma_f64 v[28:29], v[18:19], s[24:25], v[28:29]
	v_fma_f64 v[42:43], v[18:19], s[6:7], -v[60:61]
	v_add_f64 v[8:9], v[8:9], -v[12:13]
	v_add_f64 v[46:47], v[62:63], v[46:47]
	v_mul_f64 v[62:63], v[16:17], s[38:39]
	v_add_f64 v[30:31], v[30:31], v[38:39]
	v_fma_f64 v[38:39], v[18:19], s[6:7], v[60:61]
	v_mul_f64 v[60:61], v[16:17], s[34:35]
	v_mul_f64 v[12:13], v[16:17], s[40:41]
	v_add_f64 v[64:65], v[133:134], v[64:65]
	v_add_f64 v[54:55], v[119:120], v[54:55]
	;; [unrolled: 1-line block ×4, first 2 shown]
	v_fma_f64 v[16:17], v[18:19], s[20:21], -v[62:63]
	v_fma_f64 v[48:49], v[18:19], s[20:21], v[62:63]
	v_add_f64 v[38:39], v[38:39], v[58:59]
	v_fma_f64 v[50:51], v[18:19], s[30:31], -v[60:61]
	v_fma_f64 v[58:59], v[18:19], s[30:31], v[60:61]
	v_add_f64 v[10:11], v[14:15], v[10:11]
	v_mul_f64 v[14:15], v[8:9], s[26:27]
	v_fma_f64 v[60:61], v[18:19], s[4:5], -v[12:13]
	v_add_f64 v[64:65], v[125:126], v[64:65]
	v_add_f64 v[16:17], v[16:17], v[24:25]
	;; [unrolled: 1-line block ×3, first 2 shown]
	v_fma_f64 v[12:13], v[18:19], s[4:5], v[12:13]
	v_add_f64 v[18:19], v[50:51], v[32:33]
	v_mul_f64 v[26:27], v[8:9], s[40:41]
	v_fma_f64 v[48:49], v[10:11], s[24:25], -v[14:15]
	v_add_f64 v[50:51], v[60:61], v[54:55]
	v_mul_f64 v[54:55], v[8:9], s[36:37]
	v_fma_f64 v[14:15], v[10:11], s[24:25], v[14:15]
	v_add_f64 v[36:37], v[66:67], v[36:37]
	v_add_f64 v[64:65], v[117:118], v[64:65]
	;; [unrolled: 1-line block ×4, first 2 shown]
	v_mul_f64 v[20:21], v[8:9], s[54:55]
	v_fma_f64 v[56:57], v[10:11], s[4:5], -v[26:27]
	v_fma_f64 v[26:27], v[10:11], s[4:5], v[26:27]
	v_add_f64 v[48:49], v[48:49], v[52:53]
	v_mul_f64 v[52:53], v[8:9], s[28:29]
	v_fma_f64 v[58:59], v[10:11], s[6:7], -v[54:55]
	v_add_f64 v[14:15], v[14:15], v[22:23]
	v_fma_f64 v[22:23], v[10:11], s[6:7], v[54:55]
	v_fma_f64 v[54:55], v[10:11], s[16:17], -v[20:21]
	v_add_f64 v[36:37], v[56:57], v[36:37]
	v_add_f64 v[26:27], v[26:27], v[34:35]
	v_fma_f64 v[20:21], v[10:11], s[16:17], v[20:21]
	v_fma_f64 v[34:35], v[10:11], s[14:15], -v[52:53]
	v_add_f64 v[56:57], v[58:59], v[64:65]
	v_mul_f64 v[58:59], v[8:9], s[34:35]
	v_add_f64 v[22:23], v[22:23], v[46:47]
	v_fma_f64 v[46:47], v[10:11], s[14:15], v[52:53]
	v_mul_f64 v[52:53], v[8:9], s[48:49]
	v_add_f64 v[0:1], v[0:1], -v[4:5]
	v_add_f64 v[20:21], v[20:21], v[28:29]
	v_add_f64 v[28:29], v[34:35], v[42:43]
	v_mul_f64 v[8:9], v[8:9], s[18:19]
	v_fma_f64 v[4:5], v[10:11], s[30:31], -v[58:59]
	v_fma_f64 v[34:35], v[10:11], s[30:31], v[58:59]
	v_add_f64 v[38:39], v[46:47], v[38:39]
	v_fma_f64 v[42:43], v[10:11], s[20:21], -v[52:53]
	v_fma_f64 v[46:47], v[10:11], s[20:21], v[52:53]
	v_add_f64 v[2:3], v[6:7], v[2:3]
	v_mul_f64 v[6:7], v[0:1], s[34:35]
	v_mul_f64 v[52:53], v[0:1], s[48:49]
	v_add_f64 v[4:5], v[4:5], v[16:17]
	v_add_f64 v[16:17], v[34:35], v[24:25]
	v_fma_f64 v[24:25], v[10:11], s[10:11], -v[8:9]
	v_mul_f64 v[34:35], v[0:1], s[46:47]
	v_add_f64 v[18:19], v[42:43], v[18:19]
	v_add_f64 v[42:43], v[46:47], v[32:33]
	v_fma_f64 v[8:9], v[10:11], s[10:11], v[8:9]
	v_fma_f64 v[10:11], v[2:3], s[30:31], -v[6:7]
	v_mul_f64 v[46:47], v[0:1], s[26:27]
	v_fma_f64 v[6:7], v[2:3], s[30:31], v[6:7]
	v_add_f64 v[50:51], v[24:25], v[50:51]
	v_fma_f64 v[24:25], v[2:3], s[14:15], -v[34:35]
	v_fma_f64 v[34:35], v[2:3], s[14:15], v[34:35]
	v_add_f64 v[30:31], v[54:55], v[30:31]
	v_add_f64 v[8:9], v[8:9], v[12:13]
	;; [unrolled: 1-line block ×3, first 2 shown]
	v_fma_f64 v[12:13], v[2:3], s[24:25], -v[46:47]
	v_add_f64 v[32:33], v[6:7], v[14:15]
	v_fma_f64 v[6:7], v[2:3], s[24:25], v[46:47]
	v_add_f64 v[14:15], v[24:25], v[36:37]
	v_add_f64 v[24:25], v[34:35], v[26:27]
	v_fma_f64 v[26:27], v[2:3], s[20:21], v[52:53]
	v_mul_f64 v[34:35], v[0:1], s[22:23]
	v_fma_f64 v[36:37], v[2:3], s[20:21], -v[52:53]
	v_mul_f64 v[46:47], v[0:1], s[40:41]
	v_add_f64 v[12:13], v[12:13], v[56:57]
	v_add_f64 v[6:7], v[6:7], v[22:23]
	v_mul_f64 v[22:23], v[0:1], s[18:19]
	v_mul_f64 v[0:1], v[0:1], s[52:53]
	v_add_f64 v[20:21], v[26:27], v[20:21]
	v_fma_f64 v[26:27], v[2:3], s[16:17], -v[34:35]
	v_add_f64 v[30:31], v[36:37], v[30:31]
	v_fma_f64 v[36:37], v[2:3], s[4:5], -v[46:47]
	v_fma_f64 v[46:47], v[2:3], s[4:5], v[46:47]
	v_fma_f64 v[34:35], v[2:3], s[16:17], v[34:35]
	v_fma_f64 v[48:49], v[2:3], s[10:11], -v[22:23]
	v_fma_f64 v[52:53], v[2:3], s[6:7], -v[0:1]
	v_fma_f64 v[0:1], v[2:3], s[6:7], v[0:1]
	v_fma_f64 v[22:23], v[2:3], s[10:11], v[22:23]
	v_add_f64 v[2:3], v[26:27], v[28:29]
	v_add_f64 v[4:5], v[36:37], v[4:5]
	;; [unrolled: 1-line block ×8, first 2 shown]
	s_waitcnt lgkmcnt(0)
	s_barrier
	ds_write2_b64 v111, v[44:45], v[10:11] offset1:1
	ds_write2_b64 v111, v[14:15], v[12:13] offset0:2 offset1:3
	ds_write2_b64 v111, v[30:31], v[2:3] offset0:4 offset1:5
	ds_write2_b64 v111, v[4:5], v[18:19] offset0:6 offset1:7
	ds_write2_b64 v111, v[28:29], v[0:1] offset0:8 offset1:9
	ds_write2_b64 v111, v[22:23], v[16:17] offset0:10 offset1:11
	ds_write2_b64 v111, v[26:27], v[20:21] offset0:12 offset1:13
	ds_write2_b64 v111, v[6:7], v[24:25] offset0:14 offset1:15
	ds_write_b64 v111, v[32:33] offset:128
	v_add_u32_e32 v0, 0x800, v115
	v_add_u32_e32 v4, 0x1800, v115
	s_waitcnt lgkmcnt(0)
	s_barrier
	ds_read2_b64 v[16:19], v0 offset0:33 offset1:118
	v_add_u32_e32 v0, 0xc00, v115
	ds_read2_b64 v[20:23], v4 offset0:99 offset1:184
	v_add_u32_e32 v4, 0x2000, v115
	v_add_u32_e32 v8, 0x1000, v115
	ds_read2_b64 v[0:3], v0 offset0:75 offset1:194
	ds_read2_b64 v[4:7], v4 offset0:13 offset1:132
	ds_read_b64 v[28:29], v113
	ds_read2_b64 v[12:15], v8 offset0:151 offset1:236
	v_add_u32_e32 v8, 0x2400, v115
	ds_read2_b64 v[8:11], v8 offset0:89 offset1:174
	ds_read_b64 v[30:31], v115
	ds_read_b64 v[26:27], v114
                                        ; implicit-def: $vgpr44_vgpr45
                                        ; implicit-def: $vgpr38_vgpr39
                                        ; implicit-def: $vgpr36_vgpr37
	s_and_saveexec_b64 s[4:5], s[0:1]
	s_cbranch_execz .LBB0_17
; %bb.16:
	ds_read_b64 v[24:25], v116
	ds_read_b64 v[32:33], v115 offset:4352
	ds_read_b64 v[36:37], v115 offset:6664
	;; [unrolled: 1-line block ×4, first 2 shown]
.LBB0_17:
	s_or_b64 exec, exec, s[4:5]
	s_movk_i32 s4, 0xf1
	v_mul_lo_u16_sdwa v34, v112, s4 dst_sel:DWORD dst_unused:UNUSED_PAD src0_sel:BYTE_0 src1_sel:DWORD
	v_lshrrev_b16_e32 v191, 12, v34
	v_mul_lo_u16_e32 v34, 17, v191
	v_sub_u16_e32 v192, v112, v34
	v_mov_b32_e32 v34, 6
	v_lshlrev_b32_sdwa v35, v34, v192 dst_sel:DWORD dst_unused:UNUSED_PAD src0_sel:DWORD src1_sel:BYTE_0
	global_load_dwordx4 v[46:49], v35, s[8:9] offset:48
	global_load_dwordx4 v[50:53], v35, s[8:9] offset:32
	;; [unrolled: 1-line block ×3, first 2 shown]
	global_load_dwordx4 v[58:61], v35, s[8:9]
	v_mul_lo_u16_sdwa v35, v110, s4 dst_sel:DWORD dst_unused:UNUSED_PAD src0_sel:BYTE_0 src1_sel:DWORD
	v_lshrrev_b16_e32 v193, 12, v35
	v_mul_lo_u16_e32 v35, 17, v193
	v_sub_u16_e32 v194, v110, v35
	v_lshlrev_b32_sdwa v35, v34, v194 dst_sel:DWORD dst_unused:UNUSED_PAD src0_sel:DWORD src1_sel:BYTE_0
	global_load_dwordx4 v[118:121], v35, s[8:9] offset:48
	global_load_dwordx4 v[122:125], v35, s[8:9] offset:32
	;; [unrolled: 1-line block ×3, first 2 shown]
	global_load_dwordx4 v[126:129], v35, s[8:9]
	v_mul_lo_u16_sdwa v35, v109, s4 dst_sel:DWORD dst_unused:UNUSED_PAD src0_sel:BYTE_0 src1_sel:DWORD
	v_lshrrev_b16_e32 v195, 12, v35
	v_mul_lo_u16_e32 v35, 17, v195
	v_sub_u16_e32 v196, v109, v35
	v_lshlrev_b32_sdwa v34, v34, v196 dst_sel:DWORD dst_unused:UNUSED_PAD src0_sel:DWORD src1_sel:BYTE_0
	global_load_dwordx4 v[130:133], v34, s[8:9] offset:16
	global_load_dwordx4 v[134:137], v34, s[8:9]
	global_load_dwordx4 v[138:141], v34, s[8:9] offset:48
	global_load_dwordx4 v[142:145], v34, s[8:9] offset:32
	s_mov_b32 s4, 0xf0f1
	v_mul_u32_u24_sdwa v34, v108, s4 dst_sel:DWORD dst_unused:UNUSED_PAD src0_sel:WORD_0 src1_sel:DWORD
	v_lshrrev_b32_e32 v117, 20, v34
	v_mul_lo_u16_e32 v34, 17, v117
	v_sub_u16_e32 v197, v108, v34
	v_lshlrev_b32_e32 v34, 6, v197
	global_load_dwordx4 v[146:149], v34, s[8:9]
	global_load_dwordx4 v[150:153], v34, s[8:9] offset:16
	global_load_dwordx4 v[154:157], v34, s[8:9] offset:32
	;; [unrolled: 1-line block ×3, first 2 shown]
	s_mov_b32 s10, 0x134454ff
	s_mov_b32 s11, 0xbfee6f0e
	;; [unrolled: 1-line block ×10, first 2 shown]
	s_waitcnt vmcnt(0) lgkmcnt(0)
	s_barrier
	v_mul_f64 v[162:163], v[6:7], v[48:49]
	v_mul_f64 v[110:111], v[20:21], v[52:53]
	;; [unrolled: 1-line block ×9, first 2 shown]
	v_fma_f64 v[88:89], v[88:89], v[50:51], v[110:111]
	v_mul_f64 v[164:165], v[18:19], v[128:129]
	v_mul_f64 v[128:129], v[82:83], v[128:129]
	;; [unrolled: 1-line block ×3, first 2 shown]
	v_fma_f64 v[108:109], v[70:71], v[54:55], v[60:61]
	v_mul_f64 v[170:171], v[22:23], v[124:125]
	v_mul_f64 v[174:175], v[0:1], v[136:137]
	v_mul_f64 v[136:137], v[68:69], v[136:137]
	v_mul_f64 v[181:182], v[10:11], v[140:141]
	v_mul_f64 v[140:141], v[78:79], v[140:141]
	v_fma_f64 v[80:81], v[80:81], v[58:59], v[34:35]
	v_fma_f64 v[66:67], v[16:17], v[58:59], -v[42:43]
	v_fma_f64 v[58:59], v[6:7], v[46:47], -v[48:49]
	v_add_f64 v[48:49], v[108:109], v[88:89]
	v_mul_f64 v[124:125], v[90:91], v[124:125]
	v_mul_f64 v[172:173], v[8:9], v[120:121]
	;; [unrolled: 1-line block ×7, first 2 shown]
	v_fma_f64 v[70:71], v[2:3], v[54:55], -v[56:57]
	v_fma_f64 v[64:65], v[20:21], v[50:51], -v[52:53]
	v_fma_f64 v[110:111], v[74:75], v[46:47], v[162:163]
	v_fma_f64 v[54:55], v[18:19], v[126:127], -v[128:129]
	v_fma_f64 v[60:61], v[84:85], v[62:63], v[166:167]
	;; [unrolled: 2-line block ×3, first 2 shown]
	v_fma_f64 v[18:19], v[68:69], v[134:135], v[174:175]
	v_fma_f64 v[6:7], v[0:1], v[134:135], -v[136:137]
	v_fma_f64 v[0:1], v[10:11], v[138:139], -v[140:141]
	v_add_f64 v[10:11], v[66:67], -v[58:59]
	v_fma_f64 v[68:69], v[48:49], -0.5, v[100:101]
	v_mul_f64 v[189:190], v[44:45], v[160:161]
	v_mul_f64 v[160:161], v[102:103], v[160:161]
	v_fma_f64 v[74:75], v[82:83], v[126:127], v[164:165]
	v_fma_f64 v[16:17], v[22:23], v[122:123], -v[124:125]
	v_fma_f64 v[22:23], v[76:77], v[118:119], v[172:173]
	v_fma_f64 v[20:21], v[8:9], v[118:119], -v[120:121]
	;; [unrolled: 2-line block ×4, first 2 shown]
	v_fma_f64 v[4:5], v[78:79], v[138:139], v[181:182]
	v_add_f64 v[72:73], v[70:71], -v[64:65]
	v_add_f64 v[76:77], v[80:81], -v[108:109]
	;; [unrolled: 1-line block ×3, first 2 shown]
	v_add_f64 v[82:83], v[80:81], v[110:111]
	v_fma_f64 v[84:85], v[10:11], s[10:11], v[68:69]
	v_add_f64 v[86:87], v[60:61], v[62:63]
	v_fma_f64 v[68:69], v[10:11], s[14:15], v[68:69]
	v_mul_f64 v[183:184], v[32:33], v[148:149]
	v_mul_f64 v[148:149], v[94:95], v[148:149]
	;; [unrolled: 1-line block ×3, first 2 shown]
	v_add_f64 v[46:47], v[100:101], v[80:81]
	v_fma_f64 v[48:49], v[44:45], v[158:159], -v[160:161]
	v_add_f64 v[44:45], v[76:77], v[78:79]
	v_fma_f64 v[76:77], v[82:83], -0.5, v[100:101]
	v_fma_f64 v[78:79], v[72:73], s[4:5], v[84:85]
	v_add_f64 v[82:83], v[98:99], v[74:75]
	v_fma_f64 v[84:85], v[86:87], -0.5, v[98:99]
	v_add_f64 v[86:87], v[54:55], -v[20:21]
	v_mul_f64 v[185:186], v[36:37], v[152:153]
	v_fma_f64 v[68:69], v[72:73], s[16:17], v[68:69]
	v_mul_f64 v[156:157], v[104:105], v[156:157]
	v_fma_f64 v[34:35], v[32:33], v[146:147], -v[148:149]
	v_add_f64 v[32:33], v[46:47], v[108:109]
	v_fma_f64 v[46:47], v[104:105], v[154:155], v[187:188]
	v_fma_f64 v[52:53], v[102:103], v[158:159], v[189:190]
	;; [unrolled: 1-line block ×4, first 2 shown]
	v_add_f64 v[82:83], v[82:83], v[60:61]
	v_fma_f64 v[102:103], v[86:87], s[10:11], v[84:85]
	v_add_f64 v[104:105], v[56:57], -v[16:17]
	v_mul_f64 v[152:153], v[106:107], v[152:153]
	v_fma_f64 v[50:51], v[94:95], v[146:147], v[183:184]
	v_fma_f64 v[42:43], v[106:107], v[150:151], v[185:186]
	v_add_f64 v[94:95], v[108:109], -v[80:81]
	v_add_f64 v[100:101], v[88:89], -v[110:111]
	;; [unrolled: 1-line block ×4, first 2 shown]
	v_add_f64 v[72:73], v[74:75], v[22:23]
	v_fma_f64 v[78:79], v[44:45], s[6:7], v[78:79]
	v_fma_f64 v[44:45], v[44:45], s[6:7], v[68:69]
	v_add_f64 v[68:69], v[12:13], v[14:15]
	v_fma_f64 v[90:91], v[10:11], s[4:5], v[90:91]
	v_fma_f64 v[10:11], v[10:11], s[16:17], v[76:77]
	v_add_f64 v[76:77], v[82:83], v[62:63]
	v_fma_f64 v[82:83], v[104:105], s[4:5], v[102:103]
	v_add_f64 v[102:103], v[18:19], v[4:5]
	v_add_f64 v[94:95], v[94:95], v[100:101]
	;; [unrolled: 1-line block ×3, first 2 shown]
	v_fma_f64 v[72:73], v[72:73], -0.5, v[98:99]
	v_fma_f64 v[84:85], v[86:87], s[14:15], v[84:85]
	v_add_f64 v[98:99], v[60:61], -v[74:75]
	v_add_f64 v[106:107], v[62:63], -v[22:23]
	v_add_f64 v[118:119], v[96:97], v[18:19]
	v_fma_f64 v[68:69], v[68:69], -0.5, v[96:97]
	v_add_f64 v[120:121], v[6:7], -v[0:1]
	v_add_f64 v[122:123], v[8:9], -v[2:3]
	v_fma_f64 v[96:97], v[102:103], -0.5, v[96:97]
	v_fma_f64 v[90:91], v[94:95], s[6:7], v[90:91]
	v_fma_f64 v[10:11], v[94:95], s[6:7], v[10:11]
	;; [unrolled: 1-line block ×4, first 2 shown]
	v_add_f64 v[98:99], v[98:99], v[106:107]
	v_fma_f64 v[72:73], v[104:105], s[10:11], v[72:73]
	v_add_f64 v[102:103], v[118:119], v[12:13]
	v_fma_f64 v[104:105], v[120:121], s[10:11], v[68:69]
	v_add_f64 v[106:107], v[18:19], -v[12:13]
	v_add_f64 v[118:119], v[4:5], -v[14:15]
	v_fma_f64 v[68:69], v[120:121], s[14:15], v[68:69]
	v_fma_f64 v[124:125], v[122:123], s[14:15], v[96:97]
	v_add_f64 v[126:127], v[12:13], -v[18:19]
	v_add_f64 v[128:129], v[14:15], -v[4:5]
	v_fma_f64 v[96:97], v[122:123], s[10:11], v[96:97]
	v_add_f64 v[32:33], v[32:33], v[88:89]
	v_fma_f64 v[94:95], v[86:87], s[4:5], v[94:95]
	v_fma_f64 v[72:73], v[86:87], s[16:17], v[72:73]
	v_add_f64 v[86:87], v[102:103], v[14:15]
	v_fma_f64 v[102:103], v[122:123], s[4:5], v[104:105]
	v_add_f64 v[104:105], v[106:107], v[118:119]
	v_fma_f64 v[68:69], v[122:123], s[16:17], v[68:69]
	v_fma_f64 v[106:107], v[120:121], s[4:5], v[124:125]
	v_add_f64 v[118:119], v[126:127], v[128:129]
	v_fma_f64 v[96:97], v[120:121], s[16:17], v[96:97]
	v_add_f64 v[32:33], v[32:33], v[110:111]
	v_fma_f64 v[36:37], v[36:37], v[150:151], -v[152:153]
	v_fma_f64 v[38:39], v[38:39], v[154:155], -v[156:157]
	v_add_f64 v[76:77], v[76:77], v[22:23]
	v_fma_f64 v[82:83], v[100:101], s[6:7], v[82:83]
	v_fma_f64 v[84:85], v[100:101], s[6:7], v[84:85]
	v_add_f64 v[86:87], v[86:87], v[4:5]
	v_fma_f64 v[100:101], v[104:105], s[6:7], v[102:103]
	v_fma_f64 v[94:95], v[98:99], s[6:7], v[94:95]
	;; [unrolled: 1-line block ×6, first 2 shown]
	v_mov_b32_e32 v73, 3
	v_mul_u32_u24_e32 v68, 0x2a8, v191
	v_lshlrev_b32_sdwa v69, v73, v192 dst_sel:DWORD dst_unused:UNUSED_PAD src0_sel:DWORD src1_sel:BYTE_0
	v_add3_u32 v69, 0, v68, v69
	ds_write2_b64 v69, v[32:33], v[78:79] offset1:17
	ds_write2_b64 v69, v[90:91], v[10:11] offset0:34 offset1:51
	ds_write_b64 v69, v[44:45] offset:544
	v_mul_u32_u24_e32 v10, 0x2a8, v193
	v_lshlrev_b32_sdwa v11, v73, v194 dst_sel:DWORD dst_unused:UNUSED_PAD src0_sel:DWORD src1_sel:BYTE_0
	v_add3_u32 v72, 0, v10, v11
	v_mul_u32_u24_e32 v10, 0x2a8, v195
	v_lshlrev_b32_sdwa v11, v73, v196 dst_sel:DWORD dst_unused:UNUSED_PAD src0_sel:DWORD src1_sel:BYTE_0
	v_add3_u32 v73, 0, v10, v11
	v_lshlrev_b32_e32 v68, 3, v197
	ds_write2_b64 v72, v[76:77], v[82:83] offset1:17
	ds_write2_b64 v72, v[94:95], v[98:99] offset0:34 offset1:51
	ds_write_b64 v72, v[84:85] offset:544
	ds_write2_b64 v73, v[86:87], v[100:101] offset1:17
	ds_write2_b64 v73, v[104:105], v[96:97] offset0:34 offset1:51
	ds_write_b64 v73, v[102:103] offset:544
	s_and_saveexec_b64 s[18:19], s[0:1]
	s_cbranch_execz .LBB0_19
; %bb.18:
	v_add_f64 v[32:33], v[42:43], v[46:47]
	v_add_f64 v[10:11], v[50:51], v[52:53]
	v_add_f64 v[44:45], v[34:35], -v[48:49]
	v_add_f64 v[78:79], v[40:41], v[50:51]
	v_add_f64 v[76:77], v[36:37], -v[38:39]
	v_add_f64 v[82:83], v[46:47], -v[52:53]
	;; [unrolled: 1-line block ×4, first 2 shown]
	v_fma_f64 v[32:33], v[32:33], -0.5, v[40:41]
	v_fma_f64 v[10:11], v[10:11], -0.5, v[40:41]
	v_add_f64 v[40:41], v[42:43], -v[50:51]
	v_add_f64 v[78:79], v[78:79], v[42:43]
	v_fma_f64 v[94:95], v[44:45], s[10:11], v[32:33]
	v_fma_f64 v[90:91], v[76:77], s[10:11], v[10:11]
	;; [unrolled: 1-line block ×4, first 2 shown]
	v_add_f64 v[40:41], v[40:41], v[82:83]
	v_add_f64 v[82:83], v[84:85], v[86:87]
	;; [unrolled: 1-line block ×3, first 2 shown]
	v_fma_f64 v[86:87], v[76:77], s[4:5], v[94:95]
	v_fma_f64 v[84:85], v[44:45], s[16:17], v[90:91]
	;; [unrolled: 1-line block ×4, first 2 shown]
	v_add_f64 v[44:45], v[78:79], v[52:53]
	v_fma_f64 v[78:79], v[82:83], s[6:7], v[86:87]
	v_fma_f64 v[76:77], v[40:41], s[6:7], v[84:85]
	;; [unrolled: 1-line block ×4, first 2 shown]
	v_mul_lo_u16_e32 v40, 0x55, v117
	v_lshlrev_b32_e32 v40, 3, v40
	v_add3_u32 v40, 0, v68, v40
	ds_write2_b64 v40, v[44:45], v[78:79] offset1:17
	ds_write2_b64 v40, v[10:11], v[76:77] offset0:34 offset1:51
	ds_write_b64 v40, v[32:33] offset:544
.LBB0_19:
	s_or_b64 exec, exec, s[18:19]
	v_add_f64 v[10:11], v[30:31], v[66:67]
	v_add_f64 v[32:33], v[70:71], v[64:65]
	;; [unrolled: 1-line block ×3, first 2 shown]
	v_add_f64 v[40:41], v[80:81], -v[110:111]
	v_add_f64 v[44:45], v[108:109], -v[88:89]
	v_add_f64 v[76:77], v[66:67], -v[70:71]
	v_add_f64 v[66:67], v[70:71], -v[66:67]
	v_add_f64 v[80:81], v[58:59], -v[64:65]
	v_add_f64 v[10:11], v[10:11], v[70:71]
	v_fma_f64 v[32:33], v[32:33], -0.5, v[30:31]
	v_add_f64 v[70:71], v[28:29], v[54:55]
	v_fma_f64 v[30:31], v[78:79], -0.5, v[30:31]
	v_add_f64 v[84:85], v[64:65], -v[58:59]
	v_add_f64 v[82:83], v[56:57], v[16:17]
	v_add_f64 v[22:23], v[74:75], -v[22:23]
	v_add_f64 v[76:77], v[76:77], v[80:81]
	v_add_f64 v[10:11], v[10:11], v[64:65]
	v_fma_f64 v[64:65], v[40:41], s[14:15], v[32:33]
	v_fma_f64 v[32:33], v[40:41], s[10:11], v[32:33]
	v_add_f64 v[70:71], v[70:71], v[56:57]
	v_fma_f64 v[78:79], v[44:45], s[10:11], v[30:31]
	v_fma_f64 v[30:31], v[44:45], s[14:15], v[30:31]
	v_fma_f64 v[74:75], v[82:83], -0.5, v[28:29]
	v_add_f64 v[60:61], v[60:61], -v[62:63]
	v_add_f64 v[58:59], v[10:11], v[58:59]
	v_fma_f64 v[10:11], v[44:45], s[16:17], v[64:65]
	v_fma_f64 v[32:33], v[44:45], s[4:5], v[32:33]
	v_add_f64 v[44:45], v[54:55], v[20:21]
	v_fma_f64 v[78:79], v[40:41], s[16:17], v[78:79]
	v_fma_f64 v[30:31], v[40:41], s[4:5], v[30:31]
	v_add_f64 v[40:41], v[70:71], v[16:17]
	v_add_f64 v[62:63], v[54:55], -v[56:57]
	v_add_f64 v[66:67], v[66:67], v[84:85]
	v_fma_f64 v[70:71], v[76:77], s[6:7], v[10:11]
	v_add_f64 v[80:81], v[20:21], -v[16:17]
	v_fma_f64 v[10:11], v[44:45], -0.5, v[28:29]
	v_add_f64 v[28:29], v[8:9], v[2:3]
	v_add_f64 v[44:45], v[56:57], -v[54:55]
	v_add_f64 v[54:55], v[6:7], v[0:1]
	v_add_f64 v[40:41], v[40:41], v[20:21]
	v_add_f64 v[16:17], v[16:17], -v[20:21]
	v_add_f64 v[20:21], v[26:27], v[6:7]
	v_fma_f64 v[76:77], v[76:77], s[6:7], v[32:33]
	v_fma_f64 v[78:79], v[66:67], s[6:7], v[78:79]
	;; [unrolled: 1-line block ×5, first 2 shown]
	v_fma_f64 v[28:29], v[28:29], -0.5, v[26:27]
	v_add_f64 v[4:5], v[18:19], -v[4:5]
	v_add_f64 v[12:13], v[12:13], -v[14:15]
	v_fma_f64 v[14:15], v[54:55], -0.5, v[26:27]
	v_fma_f64 v[64:65], v[22:23], s[14:15], v[74:75]
	v_add_f64 v[20:21], v[20:21], v[8:9]
	v_fma_f64 v[18:19], v[60:61], s[4:5], v[30:31]
	v_fma_f64 v[30:31], v[22:23], s[16:17], v[32:33]
	v_add_f64 v[32:33], v[6:7], -v[8:9]
	v_fma_f64 v[26:27], v[4:5], s[14:15], v[28:29]
	v_add_f64 v[6:7], v[8:9], -v[6:7]
	;; [unrolled: 2-line block ×3, first 2 shown]
	v_fma_f64 v[14:15], v[12:13], s[14:15], v[14:15]
	v_add_f64 v[16:17], v[44:45], v[16:17]
	v_fma_f64 v[10:11], v[60:61], s[14:15], v[10:11]
	v_add_f64 v[44:45], v[0:1], -v[2:3]
	v_fma_f64 v[28:29], v[4:5], s[10:11], v[28:29]
	v_fma_f64 v[64:65], v[60:61], s[16:17], v[64:65]
	v_add_f64 v[62:63], v[62:63], v[80:81]
	v_add_f64 v[2:3], v[20:21], v[2:3]
	v_fma_f64 v[20:21], v[12:13], s[16:17], v[26:27]
	v_fma_f64 v[26:27], v[4:5], s[16:17], v[54:55]
	v_add_f64 v[6:7], v[6:7], v[8:9]
	v_fma_f64 v[4:5], v[4:5], s[4:5], v[14:15]
	v_fma_f64 v[10:11], v[22:23], s[4:5], v[10:11]
	;; [unrolled: 3-line block ×3, first 2 shown]
	v_fma_f64 v[54:55], v[62:63], s[6:7], v[18:19]
	v_add_f64 v[62:63], v[2:3], v[0:1]
	v_add_u32_e32 v0, 0x800, v115
	v_fma_f64 v[56:57], v[16:17], s[6:7], v[30:31]
	v_fma_f64 v[82:83], v[6:7], s[6:7], v[26:27]
	v_fma_f64 v[84:85], v[6:7], s[6:7], v[4:5]
	s_waitcnt lgkmcnt(0)
	s_barrier
	ds_read_b64 v[28:29], v113
	ds_read_b64 v[30:31], v115 offset:10880
	ds_read_b64 v[44:45], v115
	ds_read_b64 v[26:27], v114
	;; [unrolled: 1-line block ×3, first 2 shown]
	ds_read2_b64 v[4:7], v0 offset0:84 offset1:169
	v_add_u32_e32 v0, 0xc00, v115
	v_fma_f64 v[80:81], v[22:23], s[6:7], v[12:13]
	ds_read2_b64 v[12:15], v0 offset0:126 offset1:211
	v_add_u32_e32 v0, 0x1000, v115
	v_fma_f64 v[74:75], v[22:23], s[6:7], v[20:21]
	ds_read2_b64 v[20:23], v0 offset0:168 offset1:253
	v_add_u32_e32 v0, 0x1800, v115
	v_fma_f64 v[60:61], v[16:17], s[6:7], v[10:11]
	ds_read2_b64 v[16:19], v0 offset0:82 offset1:167
	v_add_u32_e32 v0, 0x1c00, v115
	ds_read2_b64 v[8:11], v0 offset0:124 offset1:209
	v_add_u32_e32 v0, 0x2000, v115
	ds_read2_b64 v[0:3], v0 offset0:166 offset1:251
	s_waitcnt lgkmcnt(0)
	s_barrier
	ds_write2_b64 v69, v[58:59], v[70:71] offset1:17
	ds_write2_b64 v69, v[78:79], v[66:67] offset0:34 offset1:51
	ds_write_b64 v69, v[76:77] offset:544
	ds_write2_b64 v72, v[40:41], v[64:65] offset1:17
	ds_write2_b64 v72, v[56:57], v[60:61] offset0:34 offset1:51
	ds_write_b64 v72, v[54:55] offset:544
	ds_write2_b64 v73, v[62:63], v[74:75] offset1:17
	ds_write2_b64 v73, v[82:83], v[84:85] offset0:34 offset1:51
	ds_write_b64 v73, v[80:81] offset:544
	s_and_saveexec_b64 s[4:5], s[0:1]
	s_cbranch_execz .LBB0_21
; %bb.20:
	v_add_f64 v[40:41], v[36:37], v[38:39]
	v_add_f64 v[50:51], v[50:51], -v[52:53]
	v_add_f64 v[52:53], v[34:35], v[48:49]
	v_add_f64 v[54:55], v[24:25], v[34:35]
	v_add_f64 v[42:43], v[42:43], -v[46:47]
	s_mov_b32 s0, 0x134454ff
	s_mov_b32 s1, 0x3fee6f0e
	v_add_f64 v[46:47], v[34:35], -v[36:37]
	v_fma_f64 v[40:41], v[40:41], -0.5, v[24:25]
	s_mov_b32 s11, 0xbfee6f0e
	v_fma_f64 v[24:25], v[52:53], -0.5, v[24:25]
	v_add_f64 v[52:53], v[48:49], -v[38:39]
	v_add_f64 v[34:35], v[36:37], -v[34:35]
	v_add_f64 v[36:37], v[54:55], v[36:37]
	s_mov_b32 s10, s0
	v_add_f64 v[56:57], v[38:39], -v[48:49]
	v_fma_f64 v[54:55], v[50:51], s[0:1], v[40:41]
	v_fma_f64 v[40:41], v[50:51], s[10:11], v[40:41]
	;; [unrolled: 1-line block ×4, first 2 shown]
	s_mov_b32 s6, 0x4755a5e
	s_mov_b32 s7, 0x3fe2cf23
	v_add_f64 v[46:47], v[46:47], v[52:53]
	v_add_f64 v[36:37], v[36:37], v[38:39]
	v_fma_f64 v[38:39], v[42:43], s[6:7], v[54:55]
	s_mov_b32 s1, 0xbfe2cf23
	s_mov_b32 s0, s6
	v_fma_f64 v[52:53], v[50:51], s[6:7], v[58:59]
	v_add_f64 v[34:35], v[34:35], v[56:57]
	v_fma_f64 v[24:25], v[50:51], s[0:1], v[24:25]
	v_fma_f64 v[40:41], v[42:43], s[0:1], v[40:41]
	s_mov_b32 s0, 0x372fe950
	s_mov_b32 s1, 0x3fd3c6ef
	v_add_f64 v[36:37], v[36:37], v[48:49]
	v_fma_f64 v[38:39], v[46:47], s[0:1], v[38:39]
	v_fma_f64 v[42:43], v[34:35], s[0:1], v[52:53]
	;; [unrolled: 1-line block ×4, first 2 shown]
	v_mul_lo_u16_e32 v40, 0x55, v117
	v_lshlrev_b32_e32 v40, 3, v40
	v_add3_u32 v40, 0, v68, v40
	ds_write2_b64 v40, v[36:37], v[38:39] offset1:17
	ds_write2_b64 v40, v[42:43], v[24:25] offset0:34 offset1:51
	ds_write_b64 v40, v[34:35] offset:544
.LBB0_21:
	s_or_b64 exec, exec, s[4:5]
	s_waitcnt lgkmcnt(0)
	s_barrier
	s_and_saveexec_b64 s[0:1], vcc
	s_cbranch_execz .LBB0_23
; %bb.22:
	v_lshlrev_b32_e32 v24, 4, v112
	v_mov_b32_e32 v25, 0
	v_lshlrev_b64 v[24:25], 4, v[24:25]
	v_mov_b32_e32 v34, s9
	v_add_co_u32_e32 v24, vcc, s8, v24
	v_addc_co_u32_e32 v25, vcc, v34, v25, vcc
	global_load_dwordx4 v[34:37], v[24:25], off offset:1200
	global_load_dwordx4 v[38:41], v[24:25], off offset:1216
	;; [unrolled: 1-line block ×16, first 2 shown]
	v_add_u32_e32 v64, 0x1000, v115
	v_add_u32_e32 v68, 0xc00, v115
	;; [unrolled: 1-line block ×6, first 2 shown]
	ds_read_b64 v[46:47], v115
	ds_read_b64 v[24:25], v114
	;; [unrolled: 1-line block ×4, first 2 shown]
	ds_read_b64 v[114:115], v115 offset:10880
	ds_read2_b64 v[64:67], v64 offset0:168 offset1:253
	ds_read2_b64 v[70:73], v68 offset0:126 offset1:211
	;; [unrolled: 1-line block ×6, first 2 shown]
	s_mov_b32 s14, 0xacd6c6b4
	s_mov_b32 s15, 0xbfc7851a
	;; [unrolled: 1-line block ×43, first 2 shown]
	s_waitcnt vmcnt(15)
	v_mul_f64 v[68:69], v[20:21], v[34:35]
	v_mul_f64 v[20:21], v[20:21], v[36:37]
	s_waitcnt vmcnt(13)
	v_mul_f64 v[76:77], v[14:15], v[48:49]
	s_waitcnt vmcnt(12)
	v_mul_f64 v[88:89], v[16:17], v[52:53]
	v_mul_f64 v[14:15], v[14:15], v[50:51]
	s_waitcnt vmcnt(11)
	v_mul_f64 v[90:91], v[12:13], v[56:57]
	s_waitcnt vmcnt(10)
	v_mul_f64 v[130:131], v[18:19], v[60:61]
	v_mul_f64 v[74:75], v[22:23], v[38:39]
	;; [unrolled: 1-line block ×3, first 2 shown]
	s_waitcnt vmcnt(6)
	v_mul_f64 v[162:163], v[10:11], v[117:118]
	v_mul_f64 v[10:11], v[10:11], v[119:120]
	s_waitcnt vmcnt(5)
	v_mul_f64 v[164:165], v[32:33], v[122:123]
	v_mul_f64 v[16:17], v[16:17], v[54:55]
	;; [unrolled: 1-line block ×3, first 2 shown]
	s_waitcnt vmcnt(1)
	v_mul_f64 v[168:169], v[28:29], v[144:145]
	s_waitcnt vmcnt(0)
	v_mul_f64 v[170:171], v[30:31], v[148:149]
	v_mul_f64 v[18:19], v[18:19], v[62:63]
	;; [unrolled: 1-line block ×9, first 2 shown]
	s_waitcnt lgkmcnt(5)
	v_fma_f64 v[80:81], v[64:65], v[36:37], v[68:69]
	v_fma_f64 v[84:85], v[64:65], v[34:35], -v[20:21]
	s_waitcnt lgkmcnt(3)
	v_fma_f64 v[68:69], v[94:95], v[54:55], v[88:89]
	v_fma_f64 v[88:89], v[72:73], v[48:49], -v[14:15]
	v_fma_f64 v[90:91], v[70:71], v[58:59], v[90:91]
	v_fma_f64 v[64:65], v[96:97], v[62:63], v[130:131]
	s_waitcnt lgkmcnt(1)
	v_fma_f64 v[58:59], v[128:129], v[119:120], v[162:163]
	v_fma_f64 v[62:63], v[128:129], v[117:118], -v[10:11]
	v_fma_f64 v[118:119], v[82:83], v[124:125], v[164:165]
	v_fma_f64 v[124:125], v[42:43], v[146:147], v[168:169]
	;; [unrolled: 1-line block ×3, first 2 shown]
	v_mul_f64 v[166:167], v[0:1], v[136:137]
	v_fma_f64 v[74:75], v[66:67], v[40:41], v[74:75]
	v_fma_f64 v[78:79], v[66:67], v[38:39], -v[22:23]
	v_fma_f64 v[86:87], v[72:73], v[50:51], v[76:77]
	v_fma_f64 v[76:77], v[94:95], v[52:53], -v[16:17]
	v_fma_f64 v[66:67], v[126:127], v[102:103], -v[8:9]
	v_fma_f64 v[130:131], v[24:25], v[134:135], v[174:175]
	s_waitcnt lgkmcnt(0)
	v_fma_f64 v[52:53], v[154:155], v[142:143], v[176:177]
	v_mul_f64 v[8:9], v[26:27], v[134:135]
	v_mul_f64 v[2:3], v[2:3], v[142:143]
	v_add_f64 v[176:177], v[124:125], -v[48:49]
	v_fma_f64 v[134:135], v[42:43], v[144:145], -v[28:29]
	v_fma_f64 v[54:55], v[114:115], v[148:149], -v[30:31]
	v_mul_f64 v[160:161], v[4:5], v[106:107]
	v_fma_f64 v[50:51], v[152:153], v[138:139], v[166:167]
	v_mul_f64 v[0:1], v[0:1], v[138:139]
	v_add_f64 v[174:175], v[130:131], -v[52:53]
	v_fma_f64 v[132:133], v[24:25], v[132:133], -v[8:9]
	v_fma_f64 v[72:73], v[154:155], v[140:141], -v[2:3]
	v_mul_f64 v[2:3], v[176:177], s[14:15]
	v_add_f64 v[114:115], v[134:135], v[54:55]
	v_mul_f64 v[156:157], v[6:7], v[98:99]
	v_mul_f64 v[6:7], v[6:7], v[100:101]
	;; [unrolled: 1-line block ×3, first 2 shown]
	v_fma_f64 v[94:95], v[70:71], v[56:57], -v[12:13]
	v_fma_f64 v[70:71], v[96:97], v[60:61], -v[18:19]
	v_fma_f64 v[60:61], v[126:127], v[104:105], v[158:159]
	v_fma_f64 v[104:105], v[110:111], v[108:109], v[160:161]
	v_add_f64 v[172:173], v[118:119], -v[50:51]
	v_fma_f64 v[128:129], v[82:83], v[122:123], -v[32:33]
	v_fma_f64 v[82:83], v[152:153], v[136:137], -v[0:1]
	v_mul_f64 v[0:1], v[174:175], s[30:31]
	v_add_f64 v[108:109], v[132:133], v[72:73]
	v_fma_f64 v[8:9], v[114:115], s[6:7], v[2:3]
	v_fma_f64 v[96:97], v[112:113], v[100:101], v[156:157]
	v_fma_f64 v[98:99], v[112:113], v[98:99], -v[6:7]
	v_fma_f64 v[112:113], v[110:111], v[106:107], -v[4:5]
	v_add_f64 v[170:171], v[104:105], -v[58:59]
	v_mul_f64 v[10:11], v[172:173], s[20:21]
	v_add_f64 v[110:111], v[128:129], v[82:83]
	v_fma_f64 v[12:13], v[108:109], s[16:17], v[0:1]
	v_add_f64 v[8:9], v[46:47], v[8:9]
	v_add_f64 v[168:169], v[96:97], -v[60:61]
	v_add_f64 v[126:127], v[90:91], -v[64:65]
	v_add_f64 v[106:107], v[112:113], v[62:63]
	v_mul_f64 v[14:15], v[170:171], s[38:39]
	v_add_f64 v[102:103], v[98:99], v[66:67]
	v_fma_f64 v[16:17], v[110:111], s[8:9], v[10:11]
	v_add_f64 v[146:147], v[134:135], -v[54:55]
	v_add_f64 v[8:9], v[12:13], v[8:9]
	v_mul_f64 v[12:13], v[168:169], s[22:23]
	v_add_f64 v[100:101], v[94:95], v[70:71]
	v_add_f64 v[142:143], v[132:133], -v[72:73]
	v_fma_f64 v[18:19], v[106:107], s[18:19], v[14:15]
	v_add_f64 v[140:141], v[124:125], v[48:49]
	v_add_f64 v[144:145], v[128:129], -v[82:83]
	v_mul_f64 v[22:23], v[146:147], s[14:15]
	v_add_f64 v[8:9], v[16:17], v[8:9]
	v_mul_f64 v[16:17], v[126:127], s[36:37]
	v_fma_f64 v[20:21], v[102:103], s[10:11], v[12:13]
	v_add_f64 v[138:139], v[130:131], v[52:53]
	v_mul_f64 v[24:25], v[142:143], s[30:31]
	v_add_f64 v[150:151], v[112:113], -v[62:63]
	v_add_f64 v[136:137], v[118:119], v[50:51]
	v_fma_f64 v[26:27], v[140:141], s[6:7], -v[22:23]
	v_add_f64 v[8:9], v[18:19], v[8:9]
	v_fma_f64 v[18:19], v[100:101], s[26:27], v[16:17]
	v_add_f64 v[158:159], v[98:99], -v[66:67]
	v_fma_f64 v[2:3], v[114:115], s[6:7], -v[2:3]
	v_fma_f64 v[28:29], v[138:139], s[16:17], -v[24:25]
	v_add_f64 v[148:149], v[104:105], v[58:59]
	v_fma_f64 v[22:23], v[140:141], s[6:7], v[22:23]
	v_add_f64 v[26:27], v[44:45], v[26:27]
	v_add_f64 v[8:9], v[20:21], v[8:9]
	v_mul_f64 v[30:31], v[150:151], s[38:39]
	v_add_f64 v[156:157], v[94:95], -v[70:71]
	v_add_f64 v[166:167], v[96:97], v[60:61]
	v_fma_f64 v[0:1], v[108:109], s[16:17], -v[0:1]
	v_add_f64 v[2:3], v[46:47], v[2:3]
	v_fma_f64 v[24:25], v[138:139], s[16:17], v[24:25]
	v_add_f64 v[26:27], v[28:29], v[26:27]
	v_add_f64 v[8:9], v[18:19], v[8:9]
	v_mul_f64 v[18:19], v[144:145], s[20:21]
	v_add_f64 v[22:23], v[44:45], v[22:23]
	v_mul_f64 v[28:29], v[158:159], s[22:23]
	v_fma_f64 v[34:35], v[148:149], s[18:19], -v[30:31]
	v_add_f64 v[120:121], v[86:87], -v[68:69]
	v_add_f64 v[154:155], v[88:89], -v[76:77]
	v_add_f64 v[164:165], v[90:91], v[64:65]
	v_fma_f64 v[10:11], v[110:111], s[8:9], -v[10:11]
	v_fma_f64 v[32:33], v[136:137], s[8:9], -v[18:19]
	v_add_f64 v[0:1], v[0:1], v[2:3]
	v_fma_f64 v[2:3], v[136:137], s[8:9], v[18:19]
	v_add_f64 v[18:19], v[24:25], v[22:23]
	v_mul_f64 v[22:23], v[156:157], s[36:37]
	v_fma_f64 v[24:25], v[166:167], s[10:11], -v[28:29]
	v_mul_f64 v[6:7], v[120:121], s[4:5]
	v_add_f64 v[122:123], v[88:89], v[76:77]
	v_add_f64 v[26:27], v[32:33], v[26:27]
	v_add_f64 v[152:153], v[84:85], -v[78:79]
	v_add_f64 v[162:163], v[86:87], v[68:69]
	v_fma_f64 v[14:15], v[106:107], s[18:19], -v[14:15]
	v_add_f64 v[0:1], v[10:11], v[0:1]
	v_fma_f64 v[10:11], v[148:149], s[18:19], v[30:31]
	v_add_f64 v[2:3], v[2:3], v[18:19]
	v_mul_f64 v[18:19], v[154:155], s[4:5]
	v_add_f64 v[26:27], v[34:35], v[26:27]
	v_fma_f64 v[30:31], v[164:165], s[26:27], -v[22:23]
	v_add_f64 v[116:117], v[80:81], -v[74:75]
	v_fma_f64 v[20:21], v[122:123], s[24:25], v[6:7]
	v_add_f64 v[160:161], v[80:81], v[74:75]
	v_fma_f64 v[12:13], v[102:103], s[10:11], -v[12:13]
	v_add_f64 v[0:1], v[14:15], v[0:1]
	v_fma_f64 v[14:15], v[166:167], s[10:11], v[28:29]
	v_add_f64 v[24:25], v[24:25], v[26:27]
	v_add_f64 v[2:3], v[10:11], v[2:3]
	v_mul_f64 v[10:11], v[152:153], s[42:43]
	v_fma_f64 v[26:27], v[162:163], s[24:25], -v[18:19]
	v_add_f64 v[56:57], v[84:85], v[78:79]
	v_mul_f64 v[4:5], v[116:117], s[42:43]
	v_fma_f64 v[16:17], v[100:101], s[26:27], -v[16:17]
	v_add_f64 v[0:1], v[12:13], v[0:1]
	v_add_f64 v[24:25], v[30:31], v[24:25]
	;; [unrolled: 1-line block ×4, first 2 shown]
	v_fma_f64 v[14:15], v[160:161], s[0:1], -v[10:11]
	v_fma_f64 v[12:13], v[164:165], s[26:27], v[22:23]
	v_fma_f64 v[28:29], v[56:57], s[0:1], v[4:5]
	v_mul_f64 v[32:33], v[142:143], s[36:37]
	v_add_f64 v[16:17], v[16:17], v[0:1]
	v_add_f64 v[20:21], v[26:27], v[24:25]
	v_mul_f64 v[26:27], v[146:147], s[20:21]
	v_mul_f64 v[36:37], v[172:173], s[34:35]
	;; [unrolled: 1-line block ×3, first 2 shown]
	v_add_f64 v[12:13], v[12:13], v[2:3]
	v_add_f64 v[2:3], v[28:29], v[8:9]
	v_mul_f64 v[28:29], v[174:175], s[36:37]
	v_mul_f64 v[179:180], v[144:145], s[34:35]
	v_add_f64 v[0:1], v[14:15], v[20:21]
	v_mul_f64 v[20:21], v[176:177], s[20:21]
	v_fma_f64 v[34:35], v[140:141], s[8:9], -v[26:27]
	v_fma_f64 v[181:182], v[138:139], s[26:27], -v[32:33]
	v_fma_f64 v[183:184], v[110:111], s[0:1], v[36:37]
	v_fma_f64 v[26:27], v[140:141], s[8:9], v[26:27]
	;; [unrolled: 1-line block ×3, first 2 shown]
	v_mul_f64 v[24:25], v[168:169], s[28:29]
	v_mul_f64 v[185:186], v[150:151], s[48:49]
	v_fma_f64 v[30:31], v[114:115], s[8:9], v[20:21]
	v_add_f64 v[34:35], v[44:45], v[34:35]
	v_fma_f64 v[20:21], v[114:115], s[8:9], -v[20:21]
	v_fma_f64 v[187:188], v[136:137], s[0:1], -v[179:180]
	;; [unrolled: 1-line block ×3, first 2 shown]
	v_fma_f64 v[32:33], v[138:139], s[26:27], v[32:33]
	v_add_f64 v[26:27], v[44:45], v[26:27]
	v_mul_f64 v[14:15], v[126:127], s[14:15]
	v_add_f64 v[30:31], v[46:47], v[30:31]
	v_add_f64 v[34:35], v[181:182], v[34:35]
	;; [unrolled: 1-line block ×3, first 2 shown]
	v_fma_f64 v[42:43], v[102:103], s[16:17], v[24:25]
	v_mul_f64 v[181:182], v[158:159], s[28:29]
	v_fma_f64 v[36:37], v[110:111], s[0:1], -v[36:37]
	v_add_f64 v[26:27], v[32:33], v[26:27]
	v_fma_f64 v[6:7], v[122:123], s[24:25], -v[6:7]
	v_add_f64 v[30:31], v[38:39], v[30:31]
	v_fma_f64 v[38:39], v[106:107], s[10:11], v[40:41]
	v_add_f64 v[34:35], v[187:188], v[34:35]
	v_add_f64 v[20:21], v[28:29], v[20:21]
	v_fma_f64 v[18:19], v[162:163], s[24:25], v[18:19]
	v_mul_f64 v[8:9], v[120:121], s[38:39]
	v_fma_f64 v[22:23], v[100:101], s[6:7], v[14:15]
	v_fma_f64 v[32:33], v[166:167], s[16:17], -v[181:182]
	v_add_f64 v[30:31], v[183:184], v[30:31]
	v_fma_f64 v[183:184], v[148:149], s[10:11], -v[185:186]
	v_fma_f64 v[40:41], v[106:107], s[10:11], -v[40:41]
	v_add_f64 v[20:21], v[36:37], v[20:21]
	v_add_f64 v[6:7], v[6:7], v[16:17]
	v_fma_f64 v[16:17], v[160:161], s[0:1], v[10:11]
	v_add_f64 v[12:13], v[18:19], v[12:13]
	v_mul_f64 v[18:19], v[116:117], s[4:5]
	v_add_f64 v[28:29], v[38:39], v[30:31]
	v_fma_f64 v[38:39], v[136:137], s[0:1], v[179:180]
	v_mul_f64 v[30:31], v[156:157], s[14:15]
	v_add_f64 v[34:35], v[183:184], v[34:35]
	v_fma_f64 v[10:11], v[122:123], s[18:19], v[8:9]
	v_mul_f64 v[36:37], v[154:155], s[38:39]
	v_fma_f64 v[24:25], v[102:103], s[16:17], -v[24:25]
	v_add_f64 v[20:21], v[40:41], v[20:21]
	v_add_f64 v[28:29], v[42:43], v[28:29]
	v_fma_f64 v[42:43], v[148:149], s[10:11], v[185:186]
	v_add_f64 v[26:27], v[38:39], v[26:27]
	v_fma_f64 v[38:39], v[164:165], s[6:7], -v[30:31]
	v_add_f64 v[32:33], v[32:33], v[34:35]
	v_fma_f64 v[34:35], v[166:167], s[16:17], v[181:182]
	v_fma_f64 v[4:5], v[56:57], s[0:1], -v[4:5]
	v_fma_f64 v[40:41], v[162:163], s[18:19], -v[36:37]
	v_add_f64 v[22:23], v[22:23], v[28:29]
	v_mul_f64 v[28:29], v[152:153], s[4:5]
	v_add_f64 v[26:27], v[42:43], v[26:27]
	v_add_f64 v[20:21], v[24:25], v[20:21]
	;; [unrolled: 1-line block ×3, first 2 shown]
	v_fma_f64 v[24:25], v[56:57], s[24:25], v[18:19]
	v_fma_f64 v[30:31], v[164:165], s[6:7], v[30:31]
	v_fma_f64 v[14:15], v[100:101], s[6:7], -v[14:15]
	v_add_f64 v[22:23], v[10:11], v[22:23]
	v_fma_f64 v[38:39], v[122:123], s[18:19], -v[8:9]
	v_add_f64 v[26:27], v[34:35], v[26:27]
	;; [unrolled: 2-line block ×3, first 2 shown]
	v_add_f64 v[10:11], v[4:5], v[6:7]
	v_add_f64 v[8:9], v[16:17], v[12:13]
	v_fma_f64 v[12:13], v[162:163], s[18:19], v[36:37]
	v_add_f64 v[6:7], v[24:25], v[22:23]
	v_mul_f64 v[24:25], v[176:177], s[22:23]
	v_add_f64 v[16:17], v[30:31], v[26:27]
	v_add_f64 v[14:15], v[14:15], v[20:21]
	;; [unrolled: 1-line block ×3, first 2 shown]
	v_mul_f64 v[30:31], v[146:147], s[22:23]
	v_mul_f64 v[36:37], v[172:173], s[28:29]
	;; [unrolled: 1-line block ×4, first 2 shown]
	v_fma_f64 v[32:33], v[114:115], s[10:11], v[24:25]
	v_add_f64 v[12:13], v[12:13], v[16:17]
	v_mul_f64 v[16:17], v[174:175], s[46:47]
	v_add_f64 v[14:15], v[38:39], v[14:15]
	v_fma_f64 v[42:43], v[140:141], s[10:11], -v[30:31]
	v_fma_f64 v[185:186], v[110:111], s[16:17], v[36:37]
	v_fma_f64 v[24:25], v[114:115], s[10:11], -v[24:25]
	v_mul_f64 v[179:180], v[168:169], s[42:43]
	v_add_f64 v[32:33], v[46:47], v[32:33]
	v_mul_f64 v[187:188], v[144:145], s[28:29]
	v_fma_f64 v[38:39], v[108:109], s[24:25], v[16:17]
	v_fma_f64 v[189:190], v[138:139], s[24:25], -v[40:41]
	v_add_f64 v[42:43], v[44:45], v[42:43]
	v_fma_f64 v[191:192], v[106:107], s[8:9], v[181:182]
	v_fma_f64 v[16:17], v[108:109], s[24:25], -v[16:17]
	v_add_f64 v[24:25], v[46:47], v[24:25]
	v_mul_f64 v[34:35], v[126:127], s[40:41]
	v_mul_f64 v[193:194], v[150:151], s[20:21]
	v_add_f64 v[32:33], v[38:39], v[32:33]
	v_fma_f64 v[38:39], v[102:103], s[0:1], v[179:180]
	v_fma_f64 v[30:31], v[140:141], s[10:11], v[30:31]
	v_fma_f64 v[195:196], v[136:137], s[16:17], -v[187:188]
	v_add_f64 v[42:43], v[189:190], v[42:43]
	v_fma_f64 v[36:37], v[110:111], s[16:17], -v[36:37]
	v_add_f64 v[16:17], v[16:17], v[24:25]
	v_mul_f64 v[20:21], v[120:121], s[14:15]
	v_add_f64 v[32:33], v[185:186], v[32:33]
	v_fma_f64 v[183:184], v[100:101], s[18:19], v[34:35]
	v_mul_f64 v[185:186], v[158:159], s[42:43]
	v_fma_f64 v[40:41], v[138:139], s[24:25], v[40:41]
	v_add_f64 v[30:31], v[44:45], v[30:31]
	v_fma_f64 v[189:190], v[148:149], s[8:9], -v[193:194]
	v_add_f64 v[42:43], v[195:196], v[42:43]
	v_fma_f64 v[181:182], v[106:107], s[8:9], -v[181:182]
	v_add_f64 v[32:33], v[191:192], v[32:33]
	v_add_f64 v[16:17], v[36:37], v[16:17]
	v_fma_f64 v[22:23], v[160:161], s[24:25], v[28:29]
	v_fma_f64 v[28:29], v[122:123], s[6:7], v[20:21]
	v_mul_f64 v[191:192], v[156:157], s[40:41]
	v_fma_f64 v[24:25], v[136:137], s[16:17], v[187:188]
	v_add_f64 v[30:31], v[40:41], v[30:31]
	v_fma_f64 v[40:41], v[166:167], s[0:1], -v[185:186]
	v_add_f64 v[32:33], v[38:39], v[32:33]
	v_add_f64 v[42:43], v[189:190], v[42:43]
	v_fma_f64 v[179:180], v[102:103], s[0:1], -v[179:180]
	v_add_f64 v[16:17], v[181:182], v[16:17]
	v_mul_f64 v[38:39], v[154:155], s[14:15]
	v_fma_f64 v[36:37], v[148:149], s[8:9], v[193:194]
	v_add_f64 v[24:25], v[24:25], v[30:31]
	v_fma_f64 v[30:31], v[164:165], s[18:19], -v[191:192]
	v_add_f64 v[32:33], v[183:184], v[32:33]
	v_add_f64 v[40:41], v[40:41], v[42:43]
	v_mul_f64 v[42:43], v[152:153], s[36:37]
	v_fma_f64 v[181:182], v[166:167], s[0:1], v[185:186]
	v_fma_f64 v[20:21], v[122:123], s[6:7], -v[20:21]
	v_mul_f64 v[187:188], v[142:143], s[50:51]
	v_add_f64 v[24:25], v[36:37], v[24:25]
	v_fma_f64 v[36:37], v[162:163], s[6:7], -v[38:39]
	v_add_f64 v[28:29], v[28:29], v[32:33]
	v_fma_f64 v[32:33], v[100:101], s[18:19], -v[34:35]
	v_add_f64 v[34:35], v[179:180], v[16:17]
	v_add_f64 v[30:31], v[30:31], v[40:41]
	;; [unrolled: 1-line block ×3, first 2 shown]
	v_fma_f64 v[179:180], v[164:165], s[18:19], v[191:192]
	v_add_f64 v[24:25], v[181:182], v[24:25]
	v_fma_f64 v[181:182], v[160:161], s[26:27], -v[42:43]
	v_mul_f64 v[185:186], v[172:173], s[38:39]
	v_mul_f64 v[197:198], v[144:145], s[38:39]
	v_add_f64 v[22:23], v[32:33], v[34:35]
	v_add_f64 v[30:31], v[36:37], v[30:31]
	v_mul_f64 v[36:37], v[176:177], s[4:5]
	v_fma_f64 v[199:200], v[138:139], s[8:9], -v[187:188]
	v_add_f64 v[24:25], v[179:180], v[24:25]
	v_mul_f64 v[179:180], v[174:175], s[50:51]
	v_mul_f64 v[193:194], v[170:171], s[44:45]
	v_fma_f64 v[195:196], v[110:111], s[18:19], v[185:186]
	v_add_f64 v[20:21], v[20:21], v[22:23]
	v_fma_f64 v[22:23], v[160:161], s[26:27], v[42:43]
	v_mul_f64 v[42:43], v[146:147], s[4:5]
	v_fma_f64 v[183:184], v[114:115], s[24:25], v[36:37]
	v_fma_f64 v[36:37], v[114:115], s[24:25], -v[36:37]
	v_fma_f64 v[191:192], v[108:109], s[8:9], v[179:180]
	v_fma_f64 v[179:180], v[108:109], s[8:9], -v[179:180]
	v_mul_f64 v[201:202], v[150:151], s[44:45]
	v_fma_f64 v[203:204], v[136:137], s[18:19], -v[197:198]
	v_fma_f64 v[185:186], v[110:111], s[18:19], -v[185:186]
	;; [unrolled: 1-line block ×3, first 2 shown]
	v_add_f64 v[183:184], v[46:47], v[183:184]
	v_add_f64 v[36:37], v[46:47], v[36:37]
	v_fma_f64 v[42:43], v[140:141], s[24:25], v[42:43]
	v_mul_f64 v[26:27], v[116:117], s[36:37]
	v_mul_f64 v[34:35], v[168:169], s[14:15]
	v_fma_f64 v[187:188], v[138:139], s[8:9], v[187:188]
	v_fma_f64 v[18:19], v[56:57], s[24:25], -v[18:19]
	v_add_f64 v[189:190], v[44:45], v[189:190]
	v_add_f64 v[183:184], v[191:192], v[183:184]
	;; [unrolled: 1-line block ×3, first 2 shown]
	v_fma_f64 v[191:192], v[106:107], s[26:27], v[193:194]
	v_add_f64 v[42:43], v[44:45], v[42:43]
	v_fma_f64 v[193:194], v[106:107], s[26:27], -v[193:194]
	v_fma_f64 v[40:41], v[56:57], s[26:27], v[26:27]
	v_add_f64 v[12:13], v[181:182], v[30:31]
	v_add_f64 v[189:190], v[199:200], v[189:190]
	;; [unrolled: 1-line block ×3, first 2 shown]
	v_mul_f64 v[183:184], v[158:159], s[14:15]
	v_fma_f64 v[195:196], v[148:149], s[26:27], -v[201:202]
	v_add_f64 v[36:37], v[185:186], v[36:37]
	v_mul_f64 v[30:31], v[126:127], s[42:43]
	v_fma_f64 v[181:182], v[102:103], s[6:7], v[34:35]
	v_mul_f64 v[185:186], v[156:157], s[42:43]
	v_add_f64 v[189:190], v[203:204], v[189:190]
	v_add_f64 v[179:180], v[191:192], v[179:180]
	v_fma_f64 v[191:192], v[166:167], s[6:7], -v[183:184]
	v_add_f64 v[42:43], v[187:188], v[42:43]
	v_fma_f64 v[34:35], v[102:103], s[6:7], -v[34:35]
	v_add_f64 v[36:37], v[193:194], v[36:37]
	v_add_f64 v[18:19], v[18:19], v[14:15]
	v_fma_f64 v[32:33], v[162:163], s[6:7], v[38:39]
	v_add_f64 v[187:188], v[195:196], v[189:190]
	v_add_f64 v[14:15], v[40:41], v[28:29]
	v_mul_f64 v[28:29], v[120:121], s[28:29]
	v_fma_f64 v[40:41], v[100:101], s[0:1], v[30:31]
	v_fma_f64 v[197:198], v[136:137], s[18:19], v[197:198]
	v_add_f64 v[179:180], v[181:182], v[179:180]
	v_mul_f64 v[181:182], v[154:155], s[28:29]
	v_fma_f64 v[189:190], v[164:165], s[0:1], -v[185:186]
	v_add_f64 v[187:188], v[191:192], v[187:188]
	v_fma_f64 v[30:31], v[100:101], s[0:1], -v[30:31]
	v_add_f64 v[34:35], v[34:35], v[36:37]
	v_add_f64 v[24:25], v[32:33], v[24:25]
	v_mul_f64 v[32:33], v[116:117], s[22:23]
	v_fma_f64 v[38:39], v[122:123], s[16:17], v[28:29]
	v_fma_f64 v[193:194], v[148:149], s[26:27], v[201:202]
	v_add_f64 v[42:43], v[197:198], v[42:43]
	v_add_f64 v[36:37], v[40:41], v[179:180]
	v_mul_f64 v[40:41], v[152:153], s[22:23]
	v_fma_f64 v[179:180], v[162:163], s[16:17], -v[181:182]
	v_add_f64 v[187:188], v[189:190], v[187:188]
	v_fma_f64 v[28:29], v[122:123], s[16:17], -v[28:29]
	v_add_f64 v[30:31], v[30:31], v[34:35]
	v_fma_f64 v[26:27], v[56:57], s[26:27], -v[26:27]
	v_fma_f64 v[183:184], v[166:167], s[6:7], v[183:184]
	v_add_f64 v[42:43], v[193:194], v[42:43]
	v_fma_f64 v[34:35], v[56:57], s[10:11], v[32:33]
	v_add_f64 v[36:37], v[38:39], v[36:37]
	v_fma_f64 v[38:39], v[160:161], s[10:11], -v[40:41]
	v_add_f64 v[179:180], v[179:180], v[187:188]
	v_fma_f64 v[32:33], v[56:57], s[10:11], -v[32:33]
	v_add_f64 v[28:29], v[28:29], v[30:31]
	v_fma_f64 v[30:31], v[162:163], s[16:17], v[181:182]
	v_mul_f64 v[181:182], v[176:177], s[34:35]
	v_fma_f64 v[185:186], v[164:165], s[0:1], v[185:186]
	v_add_f64 v[42:43], v[183:184], v[42:43]
	v_add_f64 v[26:27], v[26:27], v[20:21]
	;; [unrolled: 1-line block ×6, first 2 shown]
	v_mul_f64 v[28:29], v[174:175], s[14:15]
	v_mul_f64 v[36:37], v[146:147], s[34:35]
	v_fma_f64 v[38:39], v[114:115], s[0:1], v[181:182]
	v_add_f64 v[42:43], v[185:186], v[42:43]
	v_mul_f64 v[179:180], v[172:173], s[46:47]
	v_mul_f64 v[185:186], v[142:143], s[14:15]
	;; [unrolled: 1-line block ×4, first 2 shown]
	v_fma_f64 v[183:184], v[108:109], s[6:7], v[28:29]
	v_fma_f64 v[187:188], v[140:141], s[0:1], -v[36:37]
	v_add_f64 v[38:39], v[46:47], v[38:39]
	v_fma_f64 v[181:182], v[114:115], s[0:1], -v[181:182]
	v_fma_f64 v[195:196], v[110:111], s[24:25], v[179:180]
	v_fma_f64 v[199:200], v[138:139], s[6:7], -v[185:186]
	v_mul_f64 v[201:202], v[168:169], s[44:45]
	v_fma_f64 v[203:204], v[106:107], s[16:17], v[193:194]
	v_mul_f64 v[205:206], v[150:151], s[30:31]
	v_add_f64 v[187:188], v[44:45], v[187:188]
	v_add_f64 v[38:39], v[183:184], v[38:39]
	v_fma_f64 v[207:208], v[136:137], s[24:25], -v[197:198]
	v_fma_f64 v[28:29], v[108:109], s[6:7], -v[28:29]
	v_add_f64 v[181:182], v[46:47], v[181:182]
	v_fma_f64 v[36:37], v[140:141], s[0:1], v[36:37]
	v_mul_f64 v[189:190], v[126:127], s[20:21]
	v_fma_f64 v[209:210], v[148:149], s[16:17], -v[205:206]
	v_add_f64 v[187:188], v[199:200], v[187:188]
	v_add_f64 v[38:39], v[195:196], v[38:39]
	v_fma_f64 v[195:196], v[102:103], s[26:27], v[201:202]
	v_mul_f64 v[199:200], v[158:159], s[44:45]
	v_fma_f64 v[179:180], v[110:111], s[24:25], -v[179:180]
	v_add_f64 v[28:29], v[28:29], v[181:182]
	v_fma_f64 v[181:182], v[138:139], s[6:7], v[185:186]
	v_add_f64 v[36:37], v[44:45], v[36:37]
	v_add_f64 v[187:188], v[207:208], v[187:188]
	;; [unrolled: 1-line block ×3, first 2 shown]
	v_fma_f64 v[32:33], v[160:161], s[10:11], v[40:41]
	v_mul_f64 v[40:41], v[120:121], s[48:49]
	v_fma_f64 v[183:184], v[100:101], s[8:9], v[189:190]
	v_mul_f64 v[185:186], v[156:157], s[20:21]
	v_fma_f64 v[203:204], v[166:167], s[26:27], -v[199:200]
	v_fma_f64 v[193:194], v[106:107], s[16:17], -v[193:194]
	v_add_f64 v[187:188], v[209:210], v[187:188]
	v_add_f64 v[38:39], v[195:196], v[38:39]
	;; [unrolled: 1-line block ×3, first 2 shown]
	v_fma_f64 v[179:180], v[136:137], s[24:25], v[197:198]
	v_add_f64 v[36:37], v[181:182], v[36:37]
	v_add_f64 v[30:31], v[30:31], v[42:43]
	v_mul_f64 v[42:43], v[116:117], s[38:39]
	v_fma_f64 v[191:192], v[122:123], s[10:11], v[40:41]
	v_mul_f64 v[181:182], v[154:155], s[48:49]
	v_fma_f64 v[195:196], v[164:165], s[8:9], -v[185:186]
	v_add_f64 v[187:188], v[203:204], v[187:188]
	v_add_f64 v[38:39], v[183:184], v[38:39]
	v_fma_f64 v[183:184], v[102:103], s[26:27], -v[201:202]
	v_add_f64 v[28:29], v[193:194], v[28:29]
	v_fma_f64 v[193:194], v[148:149], s[16:17], v[205:206]
	v_add_f64 v[36:37], v[179:180], v[36:37]
	v_mul_f64 v[179:180], v[152:153], s[38:39]
	v_fma_f64 v[197:198], v[162:163], s[10:11], -v[181:182]
	v_add_f64 v[187:188], v[195:196], v[187:188]
	v_fma_f64 v[195:196], v[56:57], s[18:19], v[42:43]
	v_fma_f64 v[189:190], v[100:101], s[8:9], -v[189:190]
	v_add_f64 v[28:29], v[183:184], v[28:29]
	v_fma_f64 v[183:184], v[166:167], s[26:27], v[199:200]
	v_add_f64 v[36:37], v[193:194], v[36:37]
	v_add_f64 v[38:39], v[191:192], v[38:39]
	v_fma_f64 v[191:192], v[160:161], s[18:19], -v[179:180]
	v_add_f64 v[187:188], v[197:198], v[187:188]
	v_add_f64 v[32:33], v[32:33], v[30:31]
	v_fma_f64 v[40:41], v[122:123], s[10:11], -v[40:41]
	v_add_f64 v[189:190], v[189:190], v[28:29]
	v_fma_f64 v[185:186], v[164:165], s[8:9], v[185:186]
	v_add_f64 v[36:37], v[183:184], v[36:37]
	v_add_f64 v[30:31], v[195:196], v[38:39]
	v_mul_f64 v[38:39], v[176:177], s[44:45]
	v_mul_f64 v[183:184], v[146:147], s[44:45]
	v_add_f64 v[28:29], v[191:192], v[187:188]
	s_mov_b32 s43, 0x3fc7851a
	v_add_f64 v[40:41], v[40:41], v[189:190]
	v_mul_f64 v[189:190], v[142:143], s[22:23]
	v_add_f64 v[36:37], v[185:186], v[36:37]
	v_mul_f64 v[185:186], v[174:175], s[22:23]
	v_fma_f64 v[187:188], v[114:115], s[26:27], v[38:39]
	v_fma_f64 v[191:192], v[140:141], s[26:27], -v[183:184]
	v_fma_f64 v[38:39], v[114:115], s[26:27], -v[38:39]
	s_mov_b32 s42, s14
	v_mul_f64 v[193:194], v[172:173], s[42:43]
	v_mul_f64 v[197:198], v[144:145], s[42:43]
	v_fma_f64 v[199:200], v[138:139], s[10:11], -v[189:190]
	v_fma_f64 v[195:196], v[108:109], s[10:11], v[185:186]
	v_add_f64 v[187:188], v[46:47], v[187:188]
	v_add_f64 v[191:192], v[44:45], v[191:192]
	v_fma_f64 v[185:186], v[108:109], s[10:11], -v[185:186]
	v_add_f64 v[38:39], v[46:47], v[38:39]
	v_mul_f64 v[201:202], v[170:171], s[46:47]
	v_fma_f64 v[203:204], v[110:111], s[6:7], v[193:194]
	v_fma_f64 v[205:206], v[136:137], s[6:7], -v[197:198]
	v_fma_f64 v[193:194], v[110:111], s[6:7], -v[193:194]
	v_add_f64 v[187:188], v[195:196], v[187:188]
	v_mul_f64 v[195:196], v[150:151], s[46:47]
	v_add_f64 v[191:192], v[199:200], v[191:192]
	v_add_f64 v[38:39], v[185:186], v[38:39]
	v_mul_f64 v[185:186], v[168:169], s[38:39]
	v_fma_f64 v[199:200], v[106:107], s[24:25], v[201:202]
	v_fma_f64 v[201:202], v[106:107], s[24:25], -v[201:202]
	v_fma_f64 v[181:182], v[162:163], s[10:11], v[181:182]
	v_add_f64 v[187:188], v[203:204], v[187:188]
	v_mul_f64 v[203:204], v[158:159], s[38:39]
	v_fma_f64 v[207:208], v[148:149], s[24:25], -v[195:196]
	v_add_f64 v[191:192], v[205:206], v[191:192]
	v_add_f64 v[38:39], v[193:194], v[38:39]
	v_mul_f64 v[193:194], v[126:127], s[28:29]
	v_fma_f64 v[205:206], v[102:103], s[18:19], v[185:186]
	v_fma_f64 v[185:186], v[102:103], s[18:19], -v[185:186]
	v_add_f64 v[187:188], v[199:200], v[187:188]
	v_mul_f64 v[199:200], v[156:157], s[28:29]
	v_fma_f64 v[209:210], v[166:167], s[18:19], -v[203:204]
	v_add_f64 v[191:192], v[207:208], v[191:192]
	v_add_f64 v[38:39], v[201:202], v[38:39]
	v_mul_f64 v[201:202], v[120:121], s[34:35]
	v_fma_f64 v[207:208], v[100:101], s[16:17], v[193:194]
	v_fma_f64 v[193:194], v[100:101], s[16:17], -v[193:194]
	v_add_f64 v[187:188], v[205:206], v[187:188]
	v_mul_f64 v[205:206], v[154:155], s[34:35]
	v_fma_f64 v[211:212], v[164:165], s[16:17], -v[199:200]
	v_add_f64 v[191:192], v[209:210], v[191:192]
	v_add_f64 v[38:39], v[185:186], v[38:39]
	v_fma_f64 v[42:43], v[56:57], s[18:19], -v[42:43]
	v_mul_f64 v[185:186], v[116:117], s[20:21]
	v_fma_f64 v[209:210], v[122:123], s[0:1], v[201:202]
	v_add_f64 v[187:188], v[207:208], v[187:188]
	v_mul_f64 v[207:208], v[152:153], s[20:21]
	v_fma_f64 v[213:214], v[162:163], s[0:1], -v[205:206]
	v_add_f64 v[191:192], v[211:212], v[191:192]
	v_fma_f64 v[201:202], v[122:123], s[0:1], -v[201:202]
	v_add_f64 v[38:39], v[193:194], v[38:39]
	v_fma_f64 v[179:180], v[160:161], s[18:19], v[179:180]
	v_add_f64 v[36:37], v[181:182], v[36:37]
	v_fma_f64 v[181:182], v[56:57], s[8:9], v[185:186]
	v_add_f64 v[187:188], v[209:210], v[187:188]
	v_fma_f64 v[193:194], v[160:161], s[8:9], -v[207:208]
	v_add_f64 v[191:192], v[213:214], v[191:192]
	v_fma_f64 v[185:186], v[56:57], s[8:9], -v[185:186]
	v_add_f64 v[201:202], v[201:202], v[38:39]
	v_add_f64 v[42:43], v[42:43], v[40:41]
	v_mul_f64 v[209:210], v[176:177], s[40:41]
	v_add_f64 v[40:41], v[179:180], v[36:37]
	v_mul_f64 v[179:180], v[146:147], s[40:41]
	v_add_f64 v[38:39], v[181:182], v[187:188]
	v_fma_f64 v[183:184], v[140:141], s[26:27], v[183:184]
	v_add_f64 v[36:37], v[193:194], v[191:192]
	v_add_f64 v[181:182], v[185:186], v[201:202]
	v_mul_f64 v[185:186], v[174:175], s[34:35]
	v_fma_f64 v[187:188], v[114:115], s[18:19], v[209:210]
	v_mul_f64 v[191:192], v[142:143], s[34:35]
	v_fma_f64 v[193:194], v[140:141], s[18:19], -v[179:180]
	v_fma_f64 v[189:190], v[138:139], s[10:11], v[189:190]
	v_add_f64 v[183:184], v[44:45], v[183:184]
	v_mul_f64 v[201:202], v[172:173], s[22:23]
	v_mul_f64 v[213:214], v[144:145], s[22:23]
	v_fma_f64 v[211:212], v[108:109], s[0:1], v[185:186]
	v_add_f64 v[187:188], v[46:47], v[187:188]
	v_fma_f64 v[215:216], v[138:139], s[0:1], -v[191:192]
	v_add_f64 v[193:194], v[44:45], v[193:194]
	v_fma_f64 v[197:198], v[136:137], s[6:7], v[197:198]
	v_add_f64 v[183:184], v[189:190], v[183:184]
	v_fma_f64 v[189:190], v[148:149], s[24:25], v[195:196]
	v_mul_f64 v[195:196], v[170:171], s[14:15]
	v_fma_f64 v[217:218], v[110:111], s[10:11], v[201:202]
	v_add_f64 v[187:188], v[211:212], v[187:188]
	v_mul_f64 v[211:212], v[150:151], s[14:15]
	v_fma_f64 v[219:220], v[136:137], s[10:11], -v[213:214]
	v_add_f64 v[193:194], v[215:216], v[193:194]
	v_add_f64 v[183:184], v[197:198], v[183:184]
	v_fma_f64 v[197:198], v[166:167], s[18:19], v[203:204]
	v_mul_f64 v[203:204], v[168:169], s[50:51]
	v_fma_f64 v[215:216], v[106:107], s[6:7], v[195:196]
	v_add_f64 v[187:188], v[217:218], v[187:188]
	v_mul_f64 v[217:218], v[158:159], s[50:51]
	v_fma_f64 v[221:222], v[148:149], s[6:7], -v[211:212]
	v_add_f64 v[193:194], v[219:220], v[193:194]
	v_fma_f64 v[209:210], v[114:115], s[18:19], -v[209:210]
	v_fma_f64 v[179:180], v[140:141], s[18:19], v[179:180]
	v_fma_f64 v[219:220], v[102:103], s[8:9], v[203:204]
	v_fma_f64 v[185:186], v[108:109], s[0:1], -v[185:186]
	v_add_f64 v[187:188], v[215:216], v[187:188]
	v_mul_f64 v[215:216], v[156:157], s[46:47]
	v_fma_f64 v[223:224], v[166:167], s[8:9], -v[217:218]
	v_add_f64 v[193:194], v[221:222], v[193:194]
	v_add_f64 v[209:210], v[46:47], v[209:210]
	v_fma_f64 v[191:192], v[138:139], s[0:1], v[191:192]
	v_add_f64 v[179:180], v[44:45], v[179:180]
	v_mul_f64 v[176:177], v[176:177], s[28:29]
	v_add_f64 v[187:188], v[219:220], v[187:188]
	v_mul_f64 v[219:220], v[154:155], s[36:37]
	v_fma_f64 v[225:226], v[164:165], s[24:25], -v[215:216]
	v_add_f64 v[193:194], v[223:224], v[193:194]
	v_add_f64 v[134:135], v[46:47], v[134:135]
	;; [unrolled: 1-line block ×3, first 2 shown]
	v_fma_f64 v[201:202], v[110:111], s[10:11], -v[201:202]
	v_add_f64 v[185:186], v[185:186], v[209:210]
	v_fma_f64 v[209:210], v[136:137], s[10:11], v[213:214]
	v_add_f64 v[179:180], v[191:192], v[179:180]
	v_add_f64 v[124:125], v[44:45], v[124:125]
	v_fma_f64 v[227:228], v[162:163], s[26:27], -v[219:220]
	v_add_f64 v[193:194], v[225:226], v[193:194]
	v_mul_f64 v[174:175], v[174:175], s[40:41]
	v_fma_f64 v[225:226], v[114:115], s[16:17], v[176:177]
	v_add_f64 v[132:133], v[132:133], v[134:135]
	v_fma_f64 v[189:190], v[164:165], s[16:17], v[199:200]
	v_add_f64 v[183:184], v[197:198], v[183:184]
	v_fma_f64 v[191:192], v[106:107], s[6:7], -v[195:196]
	v_add_f64 v[185:186], v[201:202], v[185:186]
	v_fma_f64 v[201:202], v[102:103], s[8:9], -v[203:204]
	v_fma_f64 v[203:204], v[148:149], s[6:7], v[211:212]
	v_add_f64 v[179:180], v[209:210], v[179:180]
	v_add_f64 v[124:125], v[130:131], v[124:125]
	;; [unrolled: 1-line block ×3, first 2 shown]
	v_mul_f64 v[172:173], v[172:173], s[44:45]
	v_fma_f64 v[227:228], v[108:109], s[18:19], v[174:175]
	v_add_f64 v[225:226], v[46:47], v[225:226]
	v_add_f64 v[128:129], v[128:129], v[132:133]
	v_fma_f64 v[197:198], v[162:163], s[0:1], v[205:206]
	v_add_f64 v[183:184], v[189:190], v[183:184]
	v_add_f64 v[185:186], v[191:192], v[185:186]
	v_fma_f64 v[191:192], v[166:167], s[8:9], v[217:218]
	v_add_f64 v[179:180], v[203:204], v[179:180]
	v_add_f64 v[118:119], v[118:119], v[124:125]
	v_mul_f64 v[170:171], v[170:171], s[34:35]
	v_fma_f64 v[195:196], v[110:111], s[26:27], v[172:173]
	v_add_f64 v[213:214], v[227:228], v[225:226]
	v_add_f64 v[112:113], v[112:113], v[128:129]
	v_fma_f64 v[207:208], v[160:161], s[8:9], v[207:208]
	v_add_f64 v[183:184], v[197:198], v[183:184]
	v_fma_f64 v[130:131], v[164:165], s[24:25], v[215:216]
	v_add_f64 v[179:180], v[191:192], v[179:180]
	v_add_f64 v[104:105], v[104:105], v[118:119]
	v_mul_f64 v[199:200], v[126:127], s[46:47]
	v_mul_f64 v[168:169], v[168:169], s[4:5]
	v_fma_f64 v[209:210], v[106:107], s[0:1], v[170:171]
	v_add_f64 v[195:196], v[195:196], v[213:214]
	v_add_f64 v[112:113], v[98:99], v[112:113]
	v_mul_f64 v[205:206], v[120:121], s[36:37]
	v_add_f64 v[130:131], v[130:131], v[179:180]
	v_add_f64 v[179:180], v[207:208], v[183:184]
	;; [unrolled: 1-line block ×3, first 2 shown]
	v_fma_f64 v[221:222], v[100:101], s[24:25], v[199:200]
	v_fma_f64 v[199:200], v[100:101], s[24:25], -v[199:200]
	v_mul_f64 v[126:127], v[126:127], s[22:23]
	v_fma_f64 v[203:204], v[102:103], s[24:25], v[168:169]
	v_add_f64 v[134:135], v[209:210], v[195:196]
	v_add_f64 v[185:186], v[201:202], v[185:186]
	;; [unrolled: 1-line block ×4, first 2 shown]
	v_fma_f64 v[223:224], v[122:123], s[26:27], v[205:206]
	v_add_f64 v[187:188], v[221:222], v[187:188]
	v_mul_f64 v[221:222], v[152:153], s[30:31]
	v_fma_f64 v[205:206], v[122:123], s[26:27], -v[205:206]
	v_mul_f64 v[120:121], v[120:121], s[20:21]
	v_fma_f64 v[191:192], v[100:101], s[10:11], v[126:127]
	v_add_f64 v[132:133], v[203:204], v[134:135]
	v_add_f64 v[134:135], v[199:200], v[185:186]
	v_fma_f64 v[124:125], v[162:163], s[26:27], v[219:220]
	v_add_f64 v[88:89], v[88:89], v[94:95]
	v_add_f64 v[86:87], v[86:87], v[90:91]
	v_mul_f64 v[189:190], v[116:117], s[30:31]
	v_mul_f64 v[185:186], v[116:117], s[14:15]
	v_fma_f64 v[116:117], v[122:123], s[8:9], v[120:121]
	v_add_f64 v[128:129], v[191:192], v[132:133]
	v_add_f64 v[118:119], v[205:206], v[134:135]
	v_fma_f64 v[134:135], v[160:161], s[16:17], v[221:222]
	v_add_f64 v[124:125], v[124:125], v[130:131]
	v_mul_f64 v[112:113], v[146:147], s[28:29]
	v_fma_f64 v[114:115], v[114:115], s[16:17], -v[176:177]
	v_add_f64 v[84:85], v[84:85], v[88:89]
	v_add_f64 v[80:81], v[80:81], v[86:87]
	;; [unrolled: 1-line block ×3, first 2 shown]
	v_mul_f64 v[94:95], v[142:143], s[40:41]
	v_fma_f64 v[86:87], v[108:109], s[18:19], -v[174:175]
	v_add_f64 v[116:117], v[134:135], v[124:125]
	v_fma_f64 v[134:135], v[140:141], s[16:17], -v[112:113]
	v_fma_f64 v[112:113], v[140:141], s[16:17], v[112:113]
	v_add_f64 v[46:47], v[46:47], v[114:115]
	v_add_f64 v[78:79], v[78:79], v[84:85]
	;; [unrolled: 1-line block ×3, first 2 shown]
	v_mul_f64 v[142:143], v[144:145], s[44:45]
	v_fma_f64 v[88:89], v[138:139], s[18:19], -v[94:95]
	v_fma_f64 v[94:95], v[138:139], s[18:19], v[94:95]
	v_add_f64 v[134:135], v[44:45], v[134:135]
	v_add_f64 v[44:45], v[44:45], v[112:113]
	v_fma_f64 v[80:81], v[110:111], s[26:27], -v[172:173]
	v_add_f64 v[46:47], v[86:87], v[46:47]
	v_add_f64 v[76:77], v[76:77], v[78:79]
	;; [unrolled: 1-line block ×3, first 2 shown]
	v_fma_f64 v[132:133], v[56:57], s[16:17], -v[189:190]
	v_mul_f64 v[90:91], v[150:151], s[34:35]
	v_fma_f64 v[86:87], v[136:137], s[26:27], v[142:143]
	v_add_f64 v[44:45], v[94:95], v[44:45]
	v_fma_f64 v[74:75], v[106:107], s[0:1], -v[170:171]
	v_add_f64 v[46:47], v[80:81], v[46:47]
	v_add_f64 v[70:71], v[70:71], v[76:77]
	;; [unrolled: 1-line block ×3, first 2 shown]
	v_fma_f64 v[130:131], v[56:57], s[6:7], v[185:186]
	v_add_f64 v[118:119], v[132:133], v[118:119]
	v_mul_f64 v[132:133], v[158:159], s[4:5]
	v_fma_f64 v[80:81], v[148:149], s[0:1], v[90:91]
	v_add_f64 v[44:45], v[86:87], v[44:45]
	v_fma_f64 v[68:69], v[102:103], s[24:25], -v[168:169]
	v_add_f64 v[46:47], v[74:75], v[46:47]
	v_add_f64 v[66:67], v[66:67], v[70:71]
	;; [unrolled: 1-line block ×4, first 2 shown]
	v_mul_f64 v[130:131], v[156:157], s[22:23]
	v_fma_f64 v[74:75], v[166:167], s[24:25], v[132:133]
	v_add_f64 v[44:45], v[80:81], v[44:45]
	v_fma_f64 v[64:65], v[100:101], s[10:11], -v[126:127]
	v_add_f64 v[46:47], v[68:69], v[46:47]
	v_add_f64 v[62:63], v[62:63], v[66:67]
	;; [unrolled: 1-line block ×3, first 2 shown]
	v_mul_f64 v[128:129], v[154:155], s[20:21]
	v_fma_f64 v[68:69], v[164:165], s[10:11], v[130:131]
	v_fma_f64 v[60:61], v[122:123], s[8:9], -v[120:121]
	v_add_f64 v[44:45], v[74:75], v[44:45]
	v_fma_f64 v[197:198], v[56:57], s[16:17], v[189:190]
	v_add_f64 v[46:47], v[64:65], v[46:47]
	v_add_f64 v[62:63], v[82:83], v[62:63]
	;; [unrolled: 1-line block ×3, first 2 shown]
	v_mul_f64 v[124:125], v[152:153], s[14:15]
	v_fma_f64 v[64:65], v[162:163], s[8:9], v[128:129]
	v_fma_f64 v[56:57], v[56:57], s[6:7], -v[185:186]
	v_add_f64 v[44:45], v[68:69], v[44:45]
	v_fma_f64 v[78:79], v[148:149], s[0:1], -v[90:91]
	v_add_f64 v[46:47], v[60:61], v[46:47]
	v_add_f64 v[60:61], v[72:73], v[62:63]
	v_mad_u64_u32 v[62:63], s[0:1], s2, v178, 0
	v_add_f64 v[52:53], v[52:53], v[50:51]
	v_fma_f64 v[58:59], v[160:161], s[6:7], v[124:125]
	v_mov_b32_e32 v50, v63
	v_add_f64 v[44:45], v[64:65], v[44:45]
	v_add_f64 v[46:47], v[56:57], v[46:47]
	v_mad_u64_u32 v[56:57], s[0:1], s3, v178, v[50:51]
	v_add_f64 v[50:51], v[54:55], v[60:61]
	v_add_f64 v[48:49], v[48:49], v[52:53]
	v_mov_b32_e32 v63, v56
	v_add_u32_e32 v56, 0x55, v178
	v_mad_u64_u32 v[54:55], s[0:1], s2, v56, 0
	v_add_f64 v[44:45], v[58:59], v[44:45]
	v_mov_b32_e32 v52, s13
	v_add_co_u32_e32 v58, vcc, s12, v92
	v_addc_co_u32_e32 v59, vcc, v52, v93, vcc
	v_lshlrev_b64 v[52:53], 4, v[62:63]
	v_mad_u64_u32 v[55:56], s[0:1], s3, v56, v[55:56]
	v_add_co_u32_e32 v52, vcc, v58, v52
	v_addc_co_u32_e32 v53, vcc, v59, v53, vcc
	v_add_u32_e32 v60, 0xaa, v178
	v_mad_u64_u32 v[56:57], s[0:1], s2, v60, 0
	global_store_dwordx4 v[52:53], v[48:51], off
	v_fma_f64 v[84:85], v[136:137], s[26:27], -v[142:143]
	v_lshlrev_b64 v[48:49], 4, v[54:55]
	v_mov_b32_e32 v50, v57
	v_add_co_u32_e32 v48, vcc, v58, v48
	v_addc_co_u32_e32 v49, vcc, v59, v49, vcc
	global_store_dwordx4 v[48:49], v[44:47], off
	v_add_u32_e32 v48, 0xff, v178
	v_mad_u64_u32 v[50:51], s[0:1], s3, v60, v[50:51]
	v_mad_u64_u32 v[46:47], s[0:1], s2, v48, 0
	v_mov_b32_e32 v57, v50
	v_add_u32_e32 v50, 0x154, v178
	v_mad_u64_u32 v[47:48], s[0:1], s3, v48, v[47:48]
	v_lshlrev_b64 v[44:45], 4, v[56:57]
	v_mad_u64_u32 v[48:49], s[0:1], s2, v50, 0
	v_add_co_u32_e32 v44, vcc, v58, v44
	v_addc_co_u32_e32 v45, vcc, v59, v45, vcc
	global_store_dwordx4 v[44:45], v[116:119], off
	v_lshlrev_b64 v[44:45], 4, v[46:47]
	v_mov_b32_e32 v46, v49
	v_mad_u64_u32 v[46:47], s[0:1], s3, v50, v[46:47]
	v_add_co_u32_e32 v44, vcc, v58, v44
	v_addc_co_u32_e32 v45, vcc, v59, v45, vcc
	v_mov_b32_e32 v49, v46
	global_store_dwordx4 v[44:45], v[179:182], off
	v_lshlrev_b64 v[44:45], 4, v[48:49]
	v_add_u32_e32 v48, 0x1a9, v178
	v_mad_u64_u32 v[46:47], s[0:1], s2, v48, 0
	v_add_co_u32_e32 v44, vcc, v58, v44
	v_mad_u64_u32 v[47:48], s[0:1], s3, v48, v[47:48]
	v_addc_co_u32_e32 v45, vcc, v59, v45, vcc
	v_add_u32_e32 v50, 0x1fe, v178
	v_mad_u64_u32 v[48:49], s[0:1], s2, v50, 0
	global_store_dwordx4 v[44:45], v[40:43], off
	v_add_f64 v[88:89], v[88:89], v[134:135]
	v_lshlrev_b64 v[40:41], 4, v[46:47]
	v_mov_b32_e32 v42, v49
	v_add_co_u32_e32 v40, vcc, v58, v40
	v_addc_co_u32_e32 v41, vcc, v59, v41, vcc
	global_store_dwordx4 v[40:41], v[32:35], off
	v_add_u32_e32 v40, 0x253, v178
	v_mad_u64_u32 v[42:43], s[0:1], s3, v50, v[42:43]
	v_mad_u64_u32 v[34:35], s[0:1], s2, v40, 0
	v_mov_b32_e32 v49, v42
	v_lshlrev_b64 v[32:33], 4, v[48:49]
	v_mad_u64_u32 v[40:41], s[0:1], s3, v40, v[35:36]
	v_add_co_u32_e32 v32, vcc, v58, v32
	v_addc_co_u32_e32 v33, vcc, v59, v33, vcc
	v_add_u32_e32 v43, 0x2a8, v178
	v_mov_b32_e32 v35, v40
	v_mad_u64_u32 v[41:42], s[0:1], s2, v43, 0
	global_store_dwordx4 v[32:33], v[24:27], off
	v_add_f64 v[84:85], v[84:85], v[88:89]
	v_lshlrev_b64 v[24:25], 4, v[34:35]
	v_mov_b32_e32 v26, v42
	v_add_co_u32_e32 v24, vcc, v58, v24
	v_addc_co_u32_e32 v25, vcc, v59, v25, vcc
	global_store_dwordx4 v[24:25], v[16:19], off
	v_add_u32_e32 v24, 0x2fd, v178
	v_mad_u64_u32 v[26:27], s[0:1], s3, v43, v[26:27]
	v_mad_u64_u32 v[18:19], s[0:1], s2, v24, 0
	v_mov_b32_e32 v42, v26
	v_lshlrev_b64 v[16:17], 4, v[41:42]
	v_mad_u64_u32 v[24:25], s[0:1], s3, v24, v[19:20]
	v_add_co_u32_e32 v16, vcc, v58, v16
	v_addc_co_u32_e32 v17, vcc, v59, v17, vcc
	v_add_u32_e32 v27, 0x352, v178
	v_mov_b32_e32 v19, v24
	v_mad_u64_u32 v[25:26], s[0:1], s2, v27, 0
	global_store_dwordx4 v[16:17], v[8:11], off
	v_fma_f64 v[76:77], v[166:167], s[24:25], -v[132:133]
	v_lshlrev_b64 v[8:9], 4, v[18:19]
	v_mov_b32_e32 v10, v26
	v_add_co_u32_e32 v8, vcc, v58, v8
	v_addc_co_u32_e32 v9, vcc, v59, v9, vcc
	global_store_dwordx4 v[8:9], v[0:3], off
	v_add_u32_e32 v8, 0x3a7, v178
	v_mad_u64_u32 v[10:11], s[0:1], s3, v27, v[10:11]
	v_mad_u64_u32 v[2:3], s[0:1], s2, v8, 0
	v_mov_b32_e32 v26, v10
	v_add_u32_e32 v11, 0x3fc, v178
	v_mad_u64_u32 v[8:9], s[0:1], s3, v8, v[3:4]
	v_lshlrev_b64 v[0:1], 4, v[25:26]
	v_mad_u64_u32 v[9:10], s[0:1], s2, v11, 0
	v_add_co_u32_e32 v0, vcc, v58, v0
	v_addc_co_u32_e32 v1, vcc, v59, v1, vcc
	v_mov_b32_e32 v3, v8
	v_add_f64 v[78:79], v[78:79], v[84:85]
	global_store_dwordx4 v[0:1], v[4:7], off
	v_lshlrev_b64 v[0:1], 4, v[2:3]
	v_mov_b32_e32 v2, v10
	v_mad_u64_u32 v[2:3], s[0:1], s3, v11, v[2:3]
	v_add_u32_e32 v4, 0x451, v178
	v_fma_f64 v[70:71], v[164:165], s[10:11], -v[130:131]
	v_mov_b32_e32 v10, v2
	v_mad_u64_u32 v[2:3], s[0:1], s2, v4, 0
	v_add_f64 v[76:77], v[76:77], v[78:79]
	v_add_co_u32_e32 v0, vcc, v58, v0
	v_addc_co_u32_e32 v1, vcc, v59, v1, vcc
	v_mad_u64_u32 v[3:4], s[0:1], s3, v4, v[3:4]
	v_add_u32_e32 v6, 0x4a6, v178
	global_store_dwordx4 v[0:1], v[12:15], off
	v_lshlrev_b64 v[0:1], 4, v[9:10]
	v_mad_u64_u32 v[4:5], s[0:1], s2, v6, 0
	v_add_co_u32_e32 v0, vcc, v58, v0
	v_addc_co_u32_e32 v1, vcc, v59, v1, vcc
	global_store_dwordx4 v[0:1], v[20:23], off
	v_lshlrev_b64 v[0:1], 4, v[2:3]
	v_mov_b32_e32 v2, v5
	v_mad_u64_u32 v[2:3], s[0:1], s3, v6, v[2:3]
	v_fma_f64 v[66:67], v[162:163], s[8:9], -v[128:129]
	v_add_f64 v[70:71], v[70:71], v[76:77]
	v_add_co_u32_e32 v0, vcc, v58, v0
	v_addc_co_u32_e32 v1, vcc, v59, v1, vcc
	v_mov_b32_e32 v5, v2
	v_add_f64 v[187:188], v[223:224], v[187:188]
	v_fma_f64 v[223:224], v[160:161], s[16:17], -v[221:222]
	global_store_dwordx4 v[0:1], v[28:31], off
	v_lshlrev_b64 v[0:1], 4, v[4:5]
	v_add_u32_e32 v4, 0x4fb, v178
	v_mad_u64_u32 v[2:3], s[0:1], s2, v4, 0
	v_fma_f64 v[68:69], v[160:161], s[6:7], -v[124:125]
	v_add_f64 v[66:67], v[66:67], v[70:71]
	v_mad_u64_u32 v[3:4], s[0:1], s3, v4, v[3:4]
	v_add_u32_e32 v6, 0x550, v178
	v_mad_u64_u32 v[4:5], s[0:1], s2, v6, 0
	v_add_f64 v[98:99], v[197:198], v[187:188]
	v_add_f64 v[96:97], v[223:224], v[193:194]
	v_add_co_u32_e32 v0, vcc, v58, v0
	v_addc_co_u32_e32 v1, vcc, v59, v1, vcc
	global_store_dwordx4 v[0:1], v[36:39], off
	v_lshlrev_b64 v[0:1], 4, v[2:3]
	v_mov_b32_e32 v2, v5
	v_mad_u64_u32 v[2:3], s[0:1], s3, v6, v[2:3]
	v_add_f64 v[102:103], v[68:69], v[66:67]
	v_add_co_u32_e32 v0, vcc, v58, v0
	v_addc_co_u32_e32 v1, vcc, v59, v1, vcc
	v_mov_b32_e32 v5, v2
	global_store_dwordx4 v[0:1], v[96:99], off
	v_lshlrev_b64 v[0:1], 4, v[4:5]
	v_add_co_u32_e32 v0, vcc, v58, v0
	v_addc_co_u32_e32 v1, vcc, v59, v1, vcc
	global_store_dwordx4 v[0:1], v[102:105], off
.LBB0_23:
	s_endpgm
	.section	.rodata,"a",@progbits
	.p2align	6, 0x0
	.amdhsa_kernel fft_rtc_back_len1445_factors_17_5_17_wgs_85_tpt_85_halfLds_dp_ip_CI_sbrr_dirReg
		.amdhsa_group_segment_fixed_size 0
		.amdhsa_private_segment_fixed_size 0
		.amdhsa_kernarg_size 88
		.amdhsa_user_sgpr_count 6
		.amdhsa_user_sgpr_private_segment_buffer 1
		.amdhsa_user_sgpr_dispatch_ptr 0
		.amdhsa_user_sgpr_queue_ptr 0
		.amdhsa_user_sgpr_kernarg_segment_ptr 1
		.amdhsa_user_sgpr_dispatch_id 0
		.amdhsa_user_sgpr_flat_scratch_init 0
		.amdhsa_user_sgpr_private_segment_size 0
		.amdhsa_uses_dynamic_stack 0
		.amdhsa_system_sgpr_private_segment_wavefront_offset 0
		.amdhsa_system_sgpr_workgroup_id_x 1
		.amdhsa_system_sgpr_workgroup_id_y 0
		.amdhsa_system_sgpr_workgroup_id_z 0
		.amdhsa_system_sgpr_workgroup_info 0
		.amdhsa_system_vgpr_workitem_id 0
		.amdhsa_next_free_vgpr 229
		.amdhsa_next_free_sgpr 60
		.amdhsa_reserve_vcc 1
		.amdhsa_reserve_flat_scratch 0
		.amdhsa_float_round_mode_32 0
		.amdhsa_float_round_mode_16_64 0
		.amdhsa_float_denorm_mode_32 3
		.amdhsa_float_denorm_mode_16_64 3
		.amdhsa_dx10_clamp 1
		.amdhsa_ieee_mode 1
		.amdhsa_fp16_overflow 0
		.amdhsa_exception_fp_ieee_invalid_op 0
		.amdhsa_exception_fp_denorm_src 0
		.amdhsa_exception_fp_ieee_div_zero 0
		.amdhsa_exception_fp_ieee_overflow 0
		.amdhsa_exception_fp_ieee_underflow 0
		.amdhsa_exception_fp_ieee_inexact 0
		.amdhsa_exception_int_div_zero 0
	.end_amdhsa_kernel
	.text
.Lfunc_end0:
	.size	fft_rtc_back_len1445_factors_17_5_17_wgs_85_tpt_85_halfLds_dp_ip_CI_sbrr_dirReg, .Lfunc_end0-fft_rtc_back_len1445_factors_17_5_17_wgs_85_tpt_85_halfLds_dp_ip_CI_sbrr_dirReg
                                        ; -- End function
	.section	.AMDGPU.csdata,"",@progbits
; Kernel info:
; codeLenInByte = 19744
; NumSgprs: 64
; NumVgprs: 229
; ScratchSize: 0
; MemoryBound: 1
; FloatMode: 240
; IeeeMode: 1
; LDSByteSize: 0 bytes/workgroup (compile time only)
; SGPRBlocks: 7
; VGPRBlocks: 57
; NumSGPRsForWavesPerEU: 64
; NumVGPRsForWavesPerEU: 229
; Occupancy: 1
; WaveLimiterHint : 1
; COMPUTE_PGM_RSRC2:SCRATCH_EN: 0
; COMPUTE_PGM_RSRC2:USER_SGPR: 6
; COMPUTE_PGM_RSRC2:TRAP_HANDLER: 0
; COMPUTE_PGM_RSRC2:TGID_X_EN: 1
; COMPUTE_PGM_RSRC2:TGID_Y_EN: 0
; COMPUTE_PGM_RSRC2:TGID_Z_EN: 0
; COMPUTE_PGM_RSRC2:TIDIG_COMP_CNT: 0
	.type	__hip_cuid_eaed0be167a6a6af,@object ; @__hip_cuid_eaed0be167a6a6af
	.section	.bss,"aw",@nobits
	.globl	__hip_cuid_eaed0be167a6a6af
__hip_cuid_eaed0be167a6a6af:
	.byte	0                               ; 0x0
	.size	__hip_cuid_eaed0be167a6a6af, 1

	.ident	"AMD clang version 19.0.0git (https://github.com/RadeonOpenCompute/llvm-project roc-6.4.0 25133 c7fe45cf4b819c5991fe208aaa96edf142730f1d)"
	.section	".note.GNU-stack","",@progbits
	.addrsig
	.addrsig_sym __hip_cuid_eaed0be167a6a6af
	.amdgpu_metadata
---
amdhsa.kernels:
  - .args:
      - .actual_access:  read_only
        .address_space:  global
        .offset:         0
        .size:           8
        .value_kind:     global_buffer
      - .offset:         8
        .size:           8
        .value_kind:     by_value
      - .actual_access:  read_only
        .address_space:  global
        .offset:         16
        .size:           8
        .value_kind:     global_buffer
      - .actual_access:  read_only
        .address_space:  global
        .offset:         24
        .size:           8
        .value_kind:     global_buffer
      - .offset:         32
        .size:           8
        .value_kind:     by_value
      - .actual_access:  read_only
        .address_space:  global
        .offset:         40
        .size:           8
        .value_kind:     global_buffer
      - .actual_access:  read_only
        .address_space:  global
        .offset:         48
        .size:           8
        .value_kind:     global_buffer
      - .offset:         56
        .size:           4
        .value_kind:     by_value
      - .actual_access:  read_only
        .address_space:  global
        .offset:         64
        .size:           8
        .value_kind:     global_buffer
      - .actual_access:  read_only
        .address_space:  global
        .offset:         72
        .size:           8
        .value_kind:     global_buffer
      - .address_space:  global
        .offset:         80
        .size:           8
        .value_kind:     global_buffer
    .group_segment_fixed_size: 0
    .kernarg_segment_align: 8
    .kernarg_segment_size: 88
    .language:       OpenCL C
    .language_version:
      - 2
      - 0
    .max_flat_workgroup_size: 85
    .name:           fft_rtc_back_len1445_factors_17_5_17_wgs_85_tpt_85_halfLds_dp_ip_CI_sbrr_dirReg
    .private_segment_fixed_size: 0
    .sgpr_count:     64
    .sgpr_spill_count: 0
    .symbol:         fft_rtc_back_len1445_factors_17_5_17_wgs_85_tpt_85_halfLds_dp_ip_CI_sbrr_dirReg.kd
    .uniform_work_group_size: 1
    .uses_dynamic_stack: false
    .vgpr_count:     229
    .vgpr_spill_count: 0
    .wavefront_size: 64
amdhsa.target:   amdgcn-amd-amdhsa--gfx906
amdhsa.version:
  - 1
  - 2
...

	.end_amdgpu_metadata
